;; amdgpu-corpus repo=ROCm/rocFFT kind=compiled arch=gfx1201 opt=O3
	.text
	.amdgcn_target "amdgcn-amd-amdhsa--gfx1201"
	.amdhsa_code_object_version 6
	.protected	bluestein_single_fwd_len88_dim1_half_op_CI_CI ; -- Begin function bluestein_single_fwd_len88_dim1_half_op_CI_CI
	.globl	bluestein_single_fwd_len88_dim1_half_op_CI_CI
	.p2align	8
	.type	bluestein_single_fwd_len88_dim1_half_op_CI_CI,@function
bluestein_single_fwd_len88_dim1_half_op_CI_CI: ; @bluestein_single_fwd_len88_dim1_half_op_CI_CI
; %bb.0:
	s_load_b128 s[8:11], s[0:1], 0x28
	v_mul_u32_u24_e32 v1, 0x1746, v0
	s_mov_b32 s2, exec_lo
	s_delay_alu instid0(VALU_DEP_1) | instskip(NEXT) | instid1(VALU_DEP_1)
	v_lshrrev_b32_e32 v1, 16, v1
	v_mad_co_u64_u32 v[7:8], null, ttmp9, 11, v[1:2]
	v_mov_b32_e32 v8, 0
	s_wait_kmcnt 0x0
	s_delay_alu instid0(VALU_DEP_1)
	v_cmpx_gt_u64_e64 s[8:9], v[7:8]
	s_cbranch_execz .LBB0_15
; %bb.1:
	v_mul_hi_u32 v2, 0xba2e8ba3, v7
	v_mul_lo_u16 v1, v1, 11
	s_clause 0x1
	s_load_b64 s[24:25], s[0:1], 0x0
	s_load_b64 s[8:9], s[0:1], 0x38
	s_delay_alu instid0(VALU_DEP_1) | instskip(NEXT) | instid1(VALU_DEP_3)
	v_sub_nc_u16 v0, v0, v1
	v_lshrrev_b32_e32 v2, 3, v2
	s_delay_alu instid0(VALU_DEP_2) | instskip(SKIP_1) | instid1(VALU_DEP_3)
	v_and_b32_e32 v26, 0xffff, v0
	v_cmp_gt_u16_e32 vcc_lo, 8, v0
	v_mul_lo_u32 v2, v2, 11
	s_delay_alu instid0(VALU_DEP_3)
	v_lshlrev_b32_e32 v24, 2, v26
	v_or_b32_e32 v27, 8, v26
	v_or_b32_e32 v28, 16, v26
	;; [unrolled: 1-line block ×4, first 2 shown]
	v_sub_nc_u32_e32 v1, v7, v2
	v_or_b32_e32 v23, 40, v26
	v_or_b32_e32 v22, 48, v26
	;; [unrolled: 1-line block ×4, first 2 shown]
	v_mul_u32_u24_e32 v10, 0x58, v1
	v_or_b32_e32 v19, 0x48, v26
	v_or_b32_e32 v18, 0x50, v26
	s_delay_alu instid0(VALU_DEP_3) | instskip(NEXT) | instid1(VALU_DEP_1)
	v_or_b32_e32 v0, v10, v26
	v_lshlrev_b32_e32 v30, 2, v0
	s_and_saveexec_b32 s3, vcc_lo
	s_cbranch_execz .LBB0_3
; %bb.2:
	s_load_b64 s[4:5], s[0:1], 0x18
	s_wait_kmcnt 0x0
	s_load_b128 s[4:7], s[4:5], 0x0
	s_wait_kmcnt 0x0
	v_mad_co_u64_u32 v[8:9], null, s4, v28, 0
	v_mad_co_u64_u32 v[0:1], null, s6, v7, 0
	;; [unrolled: 1-line block ×8, first 2 shown]
	v_dual_mov_b32 v6, v9 :: v_dual_mov_b32 v9, v12
	s_delay_alu instid0(VALU_DEP_4)
	v_dual_mov_b32 v12, v14 :: v_dual_mov_b32 v17, v34
	v_mad_co_u64_u32 v[34:35], null, s7, v7, v[1:2]
	v_mad_co_u64_u32 v[31:32], null, s4, v22, 0
	v_mov_b32_e32 v14, v16
	v_mad_co_u64_u32 v[35:36], null, s5, v26, v[3:4]
	v_mad_co_u64_u32 v[36:37], null, s5, v27, v[5:6]
	v_mov_b32_e32 v1, v34
	v_mad_co_u64_u32 v[37:38], null, s5, v28, v[6:7]
	v_mad_co_u64_u32 v[38:39], null, s5, v29, v[9:10]
	;; [unrolled: 1-line block ×4, first 2 shown]
	v_dual_mov_b32 v16, v32 :: v_dual_mov_b32 v3, v35
	v_lshlrev_b64_e32 v[0:1], 2, v[0:1]
	s_delay_alu instid0(VALU_DEP_4) | instskip(NEXT) | instid1(VALU_DEP_3)
	v_dual_mov_b32 v9, v37 :: v_dual_mov_b32 v14, v39
	v_mad_co_u64_u32 v[41:42], null, s5, v22, v[16:17]
	v_mov_b32_e32 v16, v40
	s_delay_alu instid0(VALU_DEP_4) | instskip(NEXT) | instid1(VALU_DEP_1)
	v_add_co_u32 v42, s2, s10, v0
	v_add_co_ci_u32_e64 v43, s2, s11, v1, s2
	v_lshlrev_b64_e32 v[0:1], 2, v[13:14]
	s_delay_alu instid0(VALU_DEP_4)
	v_lshlrev_b64_e32 v[13:14], 2, v[15:16]
	v_mad_co_u64_u32 v[15:16], null, s5, v21, v[17:18]
	v_mad_co_u64_u32 v[16:17], null, s4, v20, 0
	v_dual_mov_b32 v5, v36 :: v_dual_mov_b32 v12, v38
	v_lshlrev_b64_e32 v[2:3], 2, v[2:3]
	v_lshlrev_b64_e32 v[8:9], 2, v[8:9]
	v_mad_co_u64_u32 v[35:36], null, s4, v19, 0
	s_delay_alu instid0(VALU_DEP_4)
	v_lshlrev_b64_e32 v[4:5], 2, v[4:5]
	v_mov_b32_e32 v6, v17
	v_add_co_u32 v2, s2, v42, v2
	s_wait_alu 0xf1ff
	v_add_co_ci_u32_e64 v3, s2, v43, v3, s2
	v_lshlrev_b64_e32 v[11:12], 2, v[11:12]
	v_add_co_u32 v4, s2, v42, v4
	v_mad_co_u64_u32 v[37:38], null, s5, v20, v[6:7]
	s_wait_alu 0xf1ff
	v_add_co_ci_u32_e64 v5, s2, v43, v5, s2
	v_mad_co_u64_u32 v[38:39], null, s4, v18, 0
	v_add_co_u32 v8, s2, v42, v8
	v_mov_b32_e32 v32, v41
	s_wait_alu 0xf1ff
	v_add_co_ci_u32_e64 v9, s2, v43, v9, s2
	v_mov_b32_e32 v6, v36
	v_add_co_u32 v11, s2, v42, v11
	v_mov_b32_e32 v34, v15
	s_wait_alu 0xf1ff
	v_add_co_ci_u32_e64 v12, s2, v43, v12, s2
	v_add_co_u32 v0, s2, v42, v0
	v_lshlrev_b64_e32 v[31:32], 2, v[31:32]
	v_mov_b32_e32 v17, v37
	v_mad_co_u64_u32 v[36:37], null, s5, v19, v[6:7]
	v_mov_b32_e32 v6, v39
	s_wait_alu 0xf1ff
	v_add_co_ci_u32_e64 v1, s2, v43, v1, s2
	v_add_co_u32 v13, s2, v42, v13
	v_lshlrev_b64_e32 v[33:34], 2, v[33:34]
	s_wait_alu 0xf1ff
	v_add_co_ci_u32_e64 v14, s2, v43, v14, s2
	v_add_co_u32 v31, s2, v42, v31
	v_mad_co_u64_u32 v[39:40], null, s5, v18, v[6:7]
	s_wait_alu 0xf1ff
	v_add_co_ci_u32_e64 v32, s2, v43, v32, s2
	v_lshlrev_b64_e32 v[15:16], 2, v[16:17]
	v_add_co_u32 v33, s2, v42, v33
	s_wait_alu 0xf1ff
	v_add_co_ci_u32_e64 v34, s2, v43, v34, s2
	s_clause 0xa
	global_load_b32 v37, v24, s[24:25]
	global_load_b32 v41, v24, s[24:25] offset:32
	global_load_b32 v44, v24, s[24:25] offset:64
	;; [unrolled: 1-line block ×10, first 2 shown]
	s_clause 0x7
	global_load_b32 v50, v[2:3], off
	global_load_b32 v51, v[4:5], off
	;; [unrolled: 1-line block ×8, first 2 shown]
	v_lshlrev_b64_e32 v[0:1], 2, v[35:36]
	v_add_co_u32 v2, s2, v42, v15
	v_lshlrev_b64_e32 v[4:5], 2, v[38:39]
	s_wait_alu 0xf1ff
	v_add_co_ci_u32_e64 v3, s2, v43, v16, s2
	s_delay_alu instid0(VALU_DEP_4)
	v_add_co_u32 v0, s2, v42, v0
	s_wait_alu 0xf1ff
	v_add_co_ci_u32_e64 v1, s2, v43, v1, s2
	v_add_co_u32 v4, s2, v42, v4
	s_wait_alu 0xf1ff
	v_add_co_ci_u32_e64 v5, s2, v43, v5, s2
	s_clause 0x2
	global_load_b32 v2, v[2:3], off
	global_load_b32 v0, v[0:1], off
	;; [unrolled: 1-line block ×3, first 2 shown]
	v_lshl_add_u32 v3, v10, 2, v24
	s_wait_loadcnt 0xd
	v_lshrrev_b32_e32 v35, 16, v6
	s_wait_loadcnt 0xc
	v_lshrrev_b32_e32 v36, 16, v17
	v_lshrrev_b32_e32 v4, 16, v37
	s_wait_loadcnt 0xa
	v_lshrrev_b32_e32 v39, 16, v50
	v_lshrrev_b32_e32 v5, 16, v41
	v_lshrrev_b32_e32 v15, 16, v44
	s_wait_loadcnt 0x9
	v_lshrrev_b32_e32 v43, 16, v51
	s_wait_loadcnt 0x8
	v_lshrrev_b32_e32 v53, 16, v8
	v_lshrrev_b32_e32 v16, 16, v45
	v_lshrrev_b32_e32 v31, 16, v46
	s_wait_loadcnt 0x7
	;; [unrolled: 6-line block ×3, first 2 shown]
	v_lshrrev_b32_e32 v59, 16, v12
	s_wait_loadcnt 0x4
	v_lshrrev_b32_e32 v61, 16, v13
	v_lshrrev_b32_e32 v34, 16, v49
	s_wait_loadcnt 0x3
	v_lshrrev_b32_e32 v63, 16, v14
	v_lshrrev_b32_e32 v38, 16, v40
	v_mul_f16_e32 v42, v4, v50
	v_mul_f16_e32 v4, v4, v39
	;; [unrolled: 1-line block ×5, first 2 shown]
	s_wait_loadcnt 0x2
	v_lshrrev_b32_e32 v65, 16, v2
	s_wait_loadcnt 0x1
	v_lshrrev_b32_e32 v67, 16, v0
	;; [unrolled: 2-line block ×3, first 2 shown]
	v_mul_f16_e32 v15, v15, v53
	v_mul_f16_e32 v56, v16, v9
	v_mul_f16_e32 v58, v31, v11
	v_mul_f16_e32 v16, v16, v55
	v_mul_f16_e32 v31, v31, v57
	v_mul_f16_e32 v60, v32, v12
	v_mul_f16_e32 v62, v33, v13
	v_mul_f16_e32 v32, v32, v59
	v_mul_f16_e32 v33, v33, v61
	v_mul_f16_e32 v64, v34, v14
	v_mul_f16_e32 v66, v35, v2
	v_mul_f16_e32 v34, v34, v63
	v_mul_f16_e32 v35, v35, v65
	v_mul_f16_e32 v68, v36, v0
	v_mul_f16_e32 v70, v38, v1
	v_fma_f16 v39, v37, v39, -v42
	v_mul_f16_e32 v36, v36, v67
	v_mul_f16_e32 v38, v38, v69
	v_fmac_f16_e32 v4, v37, v50
	v_fma_f16 v42, v41, v43, -v52
	v_fma_f16 v43, v44, v53, -v54
	v_fmac_f16_e32 v5, v41, v51
	v_fmac_f16_e32 v15, v44, v8
	v_fma_f16 v52, v45, v55, -v56
	v_fma_f16 v53, v46, v57, -v58
	v_fmac_f16_e32 v16, v45, v9
	;; [unrolled: 4-line block ×5, first 2 shown]
	v_fmac_f16_e32 v38, v40, v1
	v_pack_b32_f16 v0, v4, v39
	v_pack_b32_f16 v1, v5, v42
	;; [unrolled: 1-line block ×11, first 2 shown]
	ds_store_b32 v30, v0
	ds_store_2addr_b32 v3, v1, v2 offset0:8 offset1:16
	ds_store_2addr_b32 v3, v4, v5 offset0:24 offset1:32
	;; [unrolled: 1-line block ×5, first 2 shown]
.LBB0_3:
	s_or_b32 exec_lo, exec_lo, s3
	s_load_b64 s[2:3], s[0:1], 0x20
	v_mov_b32_e32 v6, 0
	v_lshlrev_b32_e32 v32, 2, v10
	global_wb scope:SCOPE_SE
	s_wait_dscnt 0x0
	s_wait_kmcnt 0x0
	s_barrier_signal -1
	s_barrier_wait -1
	global_inv scope:SCOPE_SE
                                        ; implicit-def: $vgpr1
                                        ; implicit-def: $vgpr3
                                        ; implicit-def: $vgpr5
                                        ; implicit-def: $vgpr13
                                        ; implicit-def: $vgpr15
	s_and_saveexec_b32 s4, vcc_lo
	s_cbranch_execz .LBB0_5
; %bb.4:
	v_lshl_add_u32 v0, v26, 2, v32
	ds_load_2addr_b32 v[14:15], v0 offset0:8 offset1:16
	ds_load_2addr_b32 v[12:13], v0 offset0:24 offset1:32
	;; [unrolled: 1-line block ×5, first 2 shown]
	ds_load_b32 v6, v30
.LBB0_5:
	s_wait_alu 0xfffe
	s_or_b32 exec_lo, exec_lo, s4
	s_wait_dscnt 0x1
	v_pk_add_f16 v31, v14, v1 neg_lo:[0,1] neg_hi:[0,1]
	v_pk_add_f16 v17, v1, v14
	v_pk_add_f16 v38, v15, v0 neg_lo:[0,1] neg_hi:[0,1]
	v_pk_add_f16 v37, v0, v15
	v_pk_add_f16 v40, v12, v3 neg_lo:[0,1] neg_hi:[0,1]
	v_lshrrev_b32_e32 v8, 16, v31
	v_lshrrev_b32_e32 v63, 16, v17
	v_mul_f16_e32 v52, 0xbb47, v31
	v_lshrrev_b32_e32 v11, 16, v38
	v_mul_f16_e32 v59, 0xbbeb, v31
	v_mul_f16_e32 v48, 0xb853, v8
	;; [unrolled: 1-line block ×3, first 2 shown]
	s_wait_dscnt 0x0
	v_lshrrev_b32_e32 v16, 16, v6
	v_pk_mul_f16 v9, 0x3abb36a6, v17
	v_mul_f16_e32 v47, 0xbb47, v11
	v_fmamk_f16 v8, v17, 0x3abb, v48
	v_fma_f16 v33, v63, 0x36a6, -v52
	v_fma_f16 v34, v63, 0xb08e, -v59
	v_fmamk_f16 v35, v17, 0xb08e, v56
	v_lshrrev_b32_e32 v68, 16, v37
	v_mul_f16_e32 v61, 0x3482, v11
	v_mul_f16_e32 v65, 0x3482, v38
	v_lshrrev_b32_e32 v11, 16, v40
	v_pk_fma_f16 v45, 0xbb47b853, v31, v9 op_sel:[0,0,1] op_sel_hi:[1,1,0] neg_lo:[0,1,0] neg_hi:[0,1,0]
	v_add_f16_e32 v8, v8, v6
	v_fmamk_f16 v36, v37, 0x36a6, v47
	v_pk_fma_f16 v46, 0xbb47b853, v31, v9 op_sel:[0,0,1] op_sel_hi:[1,1,0]
	v_add_f16_e32 v9, v33, v16
	v_add_f16_e32 v33, v35, v6
	;; [unrolled: 1-line block ×3, first 2 shown]
	v_pk_mul_f16 v35, 0x36a6b93d, v37
	v_mul_f16_e32 v57, 0xba0c, v38
	v_fma_f16 v42, v68, 0xbbad, -v65
	v_pk_add_f16 v41, v3, v12
	v_mul_f16_e32 v51, 0xbbeb, v11
	v_add_f16_e32 v8, v36, v8
	v_pk_fma_f16 v49, 0xba0cbb47, v38, v35 op_sel:[0,0,1] op_sel_hi:[1,1,0] neg_lo:[0,1,0] neg_hi:[0,1,0]
	v_fma_f16 v36, v68, 0xb93d, -v57
	v_fmamk_f16 v39, v37, 0xbbad, v61
	v_pk_fma_f16 v50, 0xba0cbb47, v38, v35 op_sel:[0,0,1] op_sel_hi:[1,1,0]
	v_add_f16_e32 v34, v42, v34
	v_fmamk_f16 v35, v41, 0xb08e, v51
	v_lshrrev_b32_e32 v72, 16, v41
	v_pk_add_f16 v42, v13, v2 neg_lo:[0,1] neg_hi:[0,1]
	v_mul_f16_e32 v64, 0x3482, v40
	v_add_f16_e32 v9, v36, v9
	v_add_f16_e32 v33, v39, v33
	v_add_f16_e32 v8, v35, v8
	v_mul_f16_e32 v67, 0x3b47, v11
	v_lshrrev_b32_e32 v11, 16, v42
	v_fma_f16 v35, v72, 0xbbad, -v64
	v_mul_f16_e32 v73, 0x3b47, v40
	v_pk_add_f16 v39, v2, v13
	v_pk_mul_f16 v36, 0xb08ebbad, v41
	v_fmamk_f16 v43, v41, 0x36a6, v67
	v_mul_f16_e32 v55, 0xba0c, v11
	v_add_f16_e32 v9, v35, v9
	v_fma_f16 v35, v72, 0x36a6, -v73
	v_lshrrev_b32_e32 v77, 16, v39
	v_mul_f16_e32 v62, 0x3beb, v42
	v_mul_f16_e32 v71, 0xb853, v11
	v_pk_fma_f16 v53, 0x3482bbeb, v40, v36 op_sel:[0,0,1] op_sel_hi:[1,1,0] neg_lo:[0,1,0] neg_hi:[0,1,0]
	v_pk_fma_f16 v54, 0x3482bbeb, v40, v36 op_sel:[0,0,1] op_sel_hi:[1,1,0]
	v_add_f16_e32 v33, v43, v33
	v_fmamk_f16 v36, v39, 0xb93d, v55
	v_add_f16_e32 v11, v35, v34
	v_fma_f16 v34, v77, 0xb08e, -v62
	v_fmamk_f16 v35, v39, 0x3abb, v71
	v_pk_add_f16 v43, v4, v5 neg_lo:[0,1] neg_hi:[0,1]
	v_pk_mul_f16 v44, 0xb93db08e, v39
	v_add_f16_e32 v8, v36, v8
	v_add_f16_e32 v36, v34, v9
	v_mul_f16_e32 v75, 0xb853, v42
	v_add_f16_e32 v33, v35, v33
	v_lshrrev_b32_e32 v34, 16, v43
	v_add_f16_e32 v9, v45, v16
	v_lshrrev_b32_e32 v35, 16, v46
	v_pk_fma_f16 v58, 0x3bebba0c, v42, v44 op_sel:[0,0,1] op_sel_hi:[1,1,0] neg_lo:[0,1,0] neg_hi:[0,1,0]
	v_pk_fma_f16 v60, 0x3bebba0c, v42, v44 op_sel:[0,0,1] op_sel_hi:[1,1,0]
	v_fma_f16 v69, v77, 0x3abb, -v75
	v_pk_add_f16 v44, v5, v4
	v_mul_f16_e32 v66, 0xb482, v34
	v_add_f16_e32 v9, v49, v9
	v_add_f16_e32 v35, v35, v6
	v_lshrrev_b32_e32 v70, 16, v50
	s_load_b64 s[0:1], s[0:1], 0x8
	v_add_f16_e32 v80, v69, v11
	v_fmamk_f16 v11, v44, 0xbbad, v66
	v_pk_mul_f16 v74, 0xbbad3abb, v44
	v_add_f16_e32 v76, v53, v9
	v_add_f16_e32 v35, v70, v35
	v_lshrrev_b32_e32 v70, 16, v54
	v_add_f16_e32 v9, v11, v8
	v_pk_fma_f16 v69, 0x3853b482, v43, v74 op_sel:[0,0,1] op_sel_hi:[1,1,0] neg_lo:[0,1,0] neg_hi:[0,1,0]
	v_add_f16_e32 v8, v58, v76
	v_lshrrev_b32_e32 v78, 16, v44
	v_add_f16_e32 v11, v70, v35
	v_lshrrev_b32_e32 v35, 16, v60
	v_pk_fma_f16 v70, 0x3853b482, v43, v74 op_sel:[0,0,1] op_sel_hi:[1,1,0]
	v_mul_f16_e32 v74, 0x3853, v43
	v_mul_f16_e32 v76, 0xba0c, v34
	;; [unrolled: 1-line block ×3, first 2 shown]
	v_add_f16_e32 v11, v35, v11
	v_lshrrev_b32_e32 v35, 16, v70
	v_fma_f16 v81, v78, 0x3abb, -v74
	v_fmamk_f16 v82, v44, 0xb93d, v76
	v_fma_f16 v83, v78, 0xb93d, -v79
	v_add_f16_e32 v34, v69, v8
	v_add_f16_e32 v8, v35, v11
	;; [unrolled: 1-line block ×5, first 2 shown]
	v_mul_lo_u16 v33, v26, 11
	global_wb scope:SCOPE_SE
	s_wait_kmcnt 0x0
	s_barrier_signal -1
	s_barrier_wait -1
	global_inv scope:SCOPE_SE
	s_and_saveexec_b32 s4, vcc_lo
	s_cbranch_execz .LBB0_7
; %bb.6:
	v_pk_add_f16 v14, v14, v6
	v_mul_f16_e32 v82, 0x36a6, v63
	v_mul_f16_e32 v85, 0xb93d, v68
	;; [unrolled: 1-line block ×4, first 2 shown]
	v_pk_add_f16 v14, v15, v14
	v_add_f16_e32 v52, v52, v82
	v_add_f16_e32 v57, v57, v85
	v_mul_f16_e32 v83, 0xb08e, v17
	v_mul_f16_e32 v84, 0x36a6, v37
	v_pk_add_f16 v12, v12, v14
	v_add_f16_e32 v52, v52, v16
	v_mul_f16_e32 v90, 0xb08e, v77
	v_sub_f16_e32 v48, v80, v48
	v_bfi_b32 v45, 0xffff, v46, v45
	v_pk_add_f16 v12, v13, v12
	v_add_f16_e32 v52, v57, v52
	v_add_f16_e32 v57, v64, v88
	v_mul_f16_e32 v87, 0xb08e, v41
	v_sub_f16_e32 v56, v83, v56
	v_pk_add_f16 v4, v4, v12
	v_mul_f16_e32 v83, 0x3abb, v78
	v_add_f16_e32 v52, v57, v52
	v_add_f16_e32 v57, v62, v90
	;; [unrolled: 1-line block ×3, first 2 shown]
	v_pk_add_f16 v4, v5, v4
	v_sub_f16_e32 v47, v84, v47
	v_bfi_b32 v46, 0xffff, v50, v49
	v_pk_mul_f16 v49, 0xbbad, v17 op_sel_hi:[0,1]
	v_mul_f16_e32 v63, 0xb08e, v63
	v_pk_add_f16 v2, v2, v4
	v_pk_add_f16 v4, v45, v6 op_sel:[0,1] op_sel_hi:[1,0]
	v_add_f16_e32 v52, v57, v52
	v_add_f16_e32 v57, v74, v83
	;; [unrolled: 1-line block ×3, first 2 shown]
	v_pk_add_f16 v2, v3, v2
	v_sub_f16_e32 v14, v87, v51
	v_bfi_b32 v12, 0xffff, v54, v53
	v_pk_mul_f16 v50, 0x3abb, v37 op_sel_hi:[0,1]
	v_pk_add_f16 v3, v46, v4
	v_pk_add_f16 v0, v0, v2
	v_pk_fma_f16 v2, 0xb482, v31, v49 op_sel:[0,0,1] op_sel_hi:[0,1,0]
	v_mul_f16_e32 v68, 0xbbad, v68
	v_add_f16_e32 v59, v59, v63
	v_mul_f16_e32 v63, 0x36a6, v72
	v_mul_f16_e32 v72, 0xb93d, v39
	v_add_f16_e32 v51, v57, v52
	v_add_f16_e32 v13, v14, v47
	v_bfi_b32 v47, 0xffff, v60, v58
	v_pk_fma_f16 v46, 0x3853, v38, v50 op_sel:[0,0,1] op_sel_hi:[0,1,0] neg_lo:[0,1,0] neg_hi:[0,1,0]
	v_pk_mul_f16 v52, 0xb93d, v41 op_sel_hi:[0,1]
	v_pk_add_f16 v3, v12, v3
	v_pk_add_f16 v2, v2, v6 op_sel:[0,1] op_sel_hi:[1,0]
	v_pk_fma_f16 v50, 0x3853, v38, v50 op_sel:[0,0,1] op_sel_hi:[0,1,0]
	v_add_f16_e32 v65, v65, v68
	v_mul_f16_e32 v68, 0x3abb, v77
	v_mul_f16_e32 v77, 0xbbad, v44
	v_sub_f16_e32 v14, v72, v55
	v_bfi_b32 v5, 0xffff, v70, v69
	v_pk_fma_f16 v45, 0xb482, v31, v49 op_sel:[0,0,1] op_sel_hi:[0,1,0] neg_lo:[0,1,0] neg_hi:[0,1,0]
	v_pk_mul_f16 v49, 0x36a6, v39 op_sel_hi:[0,1]
	v_pk_add_f16 v3, v47, v3
	v_pk_add_f16 v2, v50, v2
	v_pk_fma_f16 v50, 0xba0c, v40, v52 op_sel:[0,0,1] op_sel_hi:[0,1,0]
	v_alignbit_b32 v81, s0, v6, 16
	v_add_f16_e32 v13, v14, v13
	v_sub_f16_e32 v14, v77, v66
	v_pk_add_f16 v0, v1, v0
	v_pk_add_f16 v1, v5, v3
	;; [unrolled: 1-line block ×3, first 2 shown]
	v_pk_fma_f16 v5, 0x3b47, v42, v49 op_sel:[0,0,1] op_sel_hi:[0,1,0]
	v_add_f16_e32 v13, v14, v13
	v_pk_add_f16 v4, v45, v81
	v_pk_mul_f16 v31, 0xba0c, v31 op_sel_hi:[0,1]
	v_pk_fma_f16 v12, 0xba0c, v40, v52 op_sel:[0,0,1] op_sel_hi:[0,1,0] neg_lo:[0,1,0] neg_hi:[0,1,0]
	v_pk_add_f16 v2, v5, v2
	v_alignbit_b32 v5, s0, v45, 16
	v_pk_add_f16 v4, v46, v4
	v_pk_fma_f16 v47, 0x3b47, v42, v49 op_sel:[0,0,1] op_sel_hi:[0,1,0] neg_lo:[0,1,0] neg_hi:[0,1,0]
	v_alignbit_b32 v49, v51, v1, 16
	v_pack_b32_f16 v1, v13, v1
	v_pk_fma_f16 v13, 0xb93d, v17, v31 op_sel:[0,0,1] op_sel_hi:[0,1,0]
	v_pk_fma_f16 v17, 0xb93d, v17, v31 op_sel:[0,0,1] op_sel_hi:[0,1,0] neg_lo:[0,0,1] neg_hi:[0,0,1]
	v_pk_mul_f16 v31, 0x3beb, v38 op_sel_hi:[0,1]
	v_pk_add_f16 v5, v5, v6
	v_alignbit_b32 v45, s0, v46, 16
	v_mul_f16_e32 v86, 0xbbad, v37
	v_pk_add_f16 v4, v12, v4
	v_bfi_b32 v46, 0xffff, v13, v17
	v_pk_fma_f16 v50, 0xb08e, v37, v31 op_sel:[0,0,1] op_sel_hi:[0,1,0]
	v_pk_fma_f16 v31, 0xb08e, v37, v31 op_sel:[0,0,1] op_sel_hi:[0,1,0] neg_lo:[0,0,1] neg_hi:[0,0,1]
	v_pk_mul_f16 v37, 0xb853, v40 op_sel_hi:[0,1]
	v_pk_add_f16 v5, v45, v5
	v_alignbit_b32 v12, s0, v12, 16
	v_pk_add_f16 v40, v46, v6
	v_bfi_b32 v45, 0xffff, v50, v31
	v_pk_fma_f16 v46, 0x3abb, v41, v37 op_sel:[0,0,1] op_sel_hi:[0,1,0]
	v_pk_fma_f16 v37, 0x3abb, v41, v37 op_sel:[0,0,1] op_sel_hi:[0,1,0] neg_lo:[0,0,1] neg_hi:[0,0,1]
	v_lshrrev_b32_e32 v13, 16, v13
	v_pk_add_f16 v5, v12, v5
	v_alignbit_b32 v12, s0, v47, 16
	v_mul_f16_e32 v89, 0x36a6, v41
	v_add_f16_e32 v59, v59, v16
	v_add_f16_e32 v56, v56, v6
	v_sub_f16_e32 v61, v86, v61
	v_pk_add_f16 v40, v45, v40
	v_bfi_b32 v41, 0xffff, v46, v37
	v_add_f16_e32 v13, v13, v16
	v_lshrrev_b32_e32 v16, 16, v50
	v_pk_add_f16 v5, v12, v5
	v_pk_mul_f16 v12, 0xb482, v42 op_sel_hi:[0,1]
	v_add_f16_e32 v6, v17, v6
	v_mul_f16_e32 v91, 0x3abb, v39
	v_add_f16_e32 v59, v65, v59
	v_add_f16_e32 v63, v73, v63
	;; [unrolled: 1-line block ×3, first 2 shown]
	v_sub_f16_e32 v61, v89, v67
	v_pk_add_f16 v40, v41, v40
	v_add_f16_e32 v13, v16, v13
	v_lshrrev_b32_e32 v16, 16, v46
	v_pk_fma_f16 v17, 0xbbad, v39, v12 op_sel:[0,0,1] op_sel_hi:[0,1,0]
	v_pk_mul_f16 v41, 0x3b47, v43 op_sel_hi:[0,1]
	v_add_f16_e32 v6, v31, v6
	v_pk_mul_f16 v53, 0xb08e, v44 op_sel_hi:[0,1]
	v_mul_f16_e32 v65, 0xb93d, v44
	v_add_f16_e32 v59, v63, v59
	v_add_f16_e32 v63, v75, v68
	v_mul_f16_e32 v67, 0xb93d, v78
	v_add_f16_e32 v56, v61, v56
	v_sub_f16_e32 v61, v91, v71
	v_pk_fma_f16 v12, 0xbbad, v39, v12 op_sel:[0,0,1] op_sel_hi:[0,1,0] neg_lo:[0,0,1] neg_hi:[0,0,1]
	v_add_f16_e32 v13, v16, v13
	v_lshrrev_b32_e32 v16, 16, v17
	v_pk_fma_f16 v31, 0x36a6, v44, v41 op_sel:[0,0,1] op_sel_hi:[0,1,0]
	v_add_f16_e32 v6, v37, v6
	v_pk_add_f16 v3, v47, v4
	v_pk_fma_f16 v4, 0xbbeb, v43, v53 op_sel:[0,0,1] op_sel_hi:[0,1,0] neg_lo:[0,1,0] neg_hi:[0,1,0]
	v_add_f16_e32 v59, v63, v59
	v_add_f16_e32 v63, v79, v67
	;; [unrolled: 1-line block ×3, first 2 shown]
	v_sub_f16_e32 v15, v65, v76
	v_bfi_b32 v17, 0xffff, v17, v12
	v_pk_fma_f16 v37, 0x36a6, v44, v41 op_sel:[0,0,1] op_sel_hi:[0,1,0] neg_lo:[0,0,1] neg_hi:[0,0,1]
	v_add_f16_e32 v13, v16, v13
	v_lshrrev_b32_e32 v16, 16, v31
	v_add_f16_e32 v6, v12, v6
	v_pk_add_f16 v3, v4, v3
	v_pk_fma_f16 v38, 0xbbeb, v43, v53 op_sel:[0,0,1] op_sel_hi:[0,1,0]
	v_alignbit_b32 v4, s0, v4, 16
	v_and_b32_e32 v14, 0xffff, v33
	v_add_f16_e32 v48, v63, v59
	v_add_f16_e32 v15, v15, v56
	v_pk_add_f16 v12, v17, v40
	v_bfi_b32 v17, 0xffff, v31, v37
	v_add_f16_e32 v13, v16, v13
	v_add_f16_e32 v6, v37, v6
	v_pk_add_f16 v2, v38, v2
	v_pk_add_f16 v4, v4, v5
	v_add_lshl_u32 v14, v10, v14, 2
	v_pk_add_f16 v5, v17, v12
	v_pack_b32_f16 v12, v15, v48
	v_pack_b32_f16 v6, v6, v13
	v_alignbit_b32 v3, v3, v2, 16
	v_pack_b32_f16 v2, v4, v2
	v_perm_b32 v4, v36, v11, 0x5040100
	v_perm_b32 v13, v34, v9, 0x5040100
	;; [unrolled: 1-line block ×3, first 2 shown]
	ds_store_b32 v14, v0
	ds_store_2addr_b32 v14, v1, v49 offset0:1 offset1:2
	ds_store_2addr_b32 v14, v12, v6 offset0:3 offset1:4
	;; [unrolled: 1-line block ×5, first 2 shown]
.LBB0_7:
	s_wait_alu 0xfffe
	s_or_b32 exec_lo, exec_lo, s4
	v_mad_co_u64_u32 v[4:5], null, v26, 28, s[0:1]
	s_load_b128 s[20:23], s[2:3], 0x0
	global_wb scope:SCOPE_SE
	s_wait_dscnt 0x0
	s_wait_kmcnt 0x0
	s_barrier_signal -1
	s_barrier_wait -1
	global_inv scope:SCOPE_SE
	v_add_lshl_u32 v37, v10, v26, 2
	s_clause 0x1
	global_load_b128 v[0:3], v[4:5], off
	global_load_b96 v[4:6], v[4:5], off offset:16
	ds_load_2addr_b32 v[12:13], v37 offset1:11
	ds_load_2addr_b32 v[14:15], v37 offset0:22 offset1:33
	ds_load_2addr_b32 v[16:17], v37 offset0:44 offset1:55
	;; [unrolled: 1-line block ×3, first 2 shown]
	v_lshl_add_u32 v31, v26, 2, v32
	s_wait_dscnt 0x3
	v_lshrrev_b32_e32 v47, 16, v13
	s_wait_dscnt 0x2
	v_lshrrev_b32_e32 v48, 16, v14
	v_lshrrev_b32_e32 v49, 16, v15
	s_wait_dscnt 0x1
	v_lshrrev_b32_e32 v50, 16, v16
	;; [unrolled: 3-line block ×3, first 2 shown]
	v_lshrrev_b32_e32 v53, 16, v46
	v_lshrrev_b32_e32 v10, 16, v12
	s_wait_loadcnt 0x1
	v_lshrrev_b32_e32 v44, 16, v0
	v_lshrrev_b32_e32 v43, 16, v1
	;; [unrolled: 1-line block ×4, first 2 shown]
	s_wait_loadcnt 0x0
	v_lshrrev_b32_e32 v40, 16, v4
	v_lshrrev_b32_e32 v39, 16, v5
	;; [unrolled: 1-line block ×3, first 2 shown]
	v_mul_f16_e32 v54, v47, v44
	v_mul_f16_e32 v55, v13, v44
	;; [unrolled: 1-line block ×14, first 2 shown]
	v_fma_f16 v13, v13, v0, -v54
	v_fmac_f16_e32 v55, v47, v0
	v_fma_f16 v14, v14, v1, -v56
	v_fmac_f16_e32 v57, v48, v1
	;; [unrolled: 2-line block ×7, first 2 shown]
	v_sub_f16_e32 v16, v12, v16
	v_sub_f16_e32 v47, v10, v61
	;; [unrolled: 1-line block ×8, first 2 shown]
	v_fma_f16 v12, v12, 2.0, -v16
	v_fma_f16 v51, v10, 2.0, -v47
	;; [unrolled: 1-line block ×8, first 2 shown]
	v_sub_f16_e32 v54, v16, v48
	v_add_f16_e32 v45, v47, v45
	v_sub_f16_e32 v50, v17, v50
	v_add_f16_e32 v46, v49, v46
	v_sub_f16_e32 v55, v12, v10
	v_sub_f16_e32 v14, v51, v14
	v_fma_f16 v16, v16, 2.0, -v54
	v_fma_f16 v56, v47, 2.0, -v45
	v_sub_f16_e32 v15, v13, v15
	v_sub_f16_e32 v48, v52, v53
	v_fma_f16 v17, v17, 2.0, -v50
	v_fma_f16 v53, v49, 2.0, -v46
	v_fmamk_f16 v10, v50, 0x39a8, v54
	v_fmamk_f16 v47, v46, 0x39a8, v45
	v_fma_f16 v57, v12, 2.0, -v55
	v_fma_f16 v58, v51, 2.0, -v14
	;; [unrolled: 1-line block ×4, first 2 shown]
	v_fmamk_f16 v12, v17, 0xb9a8, v16
	v_fmamk_f16 v49, v53, 0xb9a8, v56
	v_sub_f16_e32 v13, v55, v48
	v_add_f16_e32 v48, v14, v15
	v_fmac_f16_e32 v10, 0xb9a8, v46
	v_fmac_f16_e32 v47, 0x39a8, v50
	v_sub_f16_e32 v15, v57, v51
	v_sub_f16_e32 v50, v58, v52
	v_fmac_f16_e32 v12, 0xb9a8, v53
	v_fmac_f16_e32 v49, 0x39a8, v17
	v_fma_f16 v17, v55, 2.0, -v13
	v_fma_f16 v52, v14, 2.0, -v48
	;; [unrolled: 1-line block ×8, first 2 shown]
	v_pack_b32_f16 v54, v13, v48
	v_pack_b32_f16 v55, v10, v47
	;; [unrolled: 1-line block ×8, first 2 shown]
	ds_store_2addr_b32 v31, v54, v55 offset0:66 offset1:77
	ds_store_2addr_b32 v31, v56, v57 offset0:22 offset1:33
	;; [unrolled: 1-line block ×3, first 2 shown]
	ds_store_2addr_b32 v31, v60, v61 offset1:11
	global_wb scope:SCOPE_SE
	s_wait_dscnt 0x0
	s_barrier_signal -1
	s_barrier_wait -1
	global_inv scope:SCOPE_SE
	s_and_saveexec_b32 s0, vcc_lo
	s_cbranch_execz .LBB0_9
; %bb.8:
	global_load_b32 v54, v24, s[24:25] offset:352
	s_add_nc_u64 s[2:3], s[24:25], 0x160
	s_clause 0x9
	global_load_b32 v64, v24, s[2:3] offset:32
	global_load_b32 v65, v24, s[2:3] offset:64
	;; [unrolled: 1-line block ×10, first 2 shown]
	ds_load_b32 v55, v30
	s_wait_dscnt 0x0
	v_lshrrev_b32_e32 v56, 16, v55
	s_wait_loadcnt 0x9
	v_lshrrev_b32_e32 v74, 16, v64
	s_wait_loadcnt 0x8
	;; [unrolled: 2-line block ×6, first 2 shown]
	v_lshrrev_b32_e32 v79, 16, v69
	v_lshrrev_b32_e32 v57, 16, v54
	s_wait_loadcnt 0x3
	v_lshrrev_b32_e32 v80, 16, v70
	s_wait_loadcnt 0x2
	;; [unrolled: 2-line block ×4, first 2 shown]
	v_lshrrev_b32_e32 v83, 16, v73
	v_mul_f16_e32 v58, v56, v57
	v_mul_f16_e32 v57, v55, v57
	s_delay_alu instid0(VALU_DEP_2) | instskip(NEXT) | instid1(VALU_DEP_2)
	v_fma_f16 v55, v55, v54, -v58
	v_fmac_f16_e32 v57, v56, v54
	s_delay_alu instid0(VALU_DEP_1)
	v_pack_b32_f16 v54, v55, v57
	ds_store_b32 v30, v54
	ds_load_2addr_b32 v[54:55], v31 offset0:8 offset1:16
	ds_load_2addr_b32 v[56:57], v31 offset0:24 offset1:32
	;; [unrolled: 1-line block ×5, first 2 shown]
	s_wait_dscnt 0x4
	v_lshrrev_b32_e32 v84, 16, v54
	v_lshrrev_b32_e32 v86, 16, v55
	s_wait_dscnt 0x3
	v_lshrrev_b32_e32 v88, 16, v56
	v_lshrrev_b32_e32 v90, 16, v57
	;; [unrolled: 3-line block ×5, first 2 shown]
	v_mul_f16_e32 v85, v54, v74
	v_mul_f16_e32 v87, v55, v75
	v_mul_f16_e32 v74, v84, v74
	v_mul_f16_e32 v75, v86, v75
	v_mul_f16_e32 v89, v56, v76
	v_mul_f16_e32 v91, v57, v77
	v_mul_f16_e32 v76, v88, v76
	v_mul_f16_e32 v77, v90, v77
	v_mul_f16_e32 v93, v58, v78
	v_mul_f16_e32 v95, v59, v79
	v_mul_f16_e32 v78, v92, v78
	v_mul_f16_e32 v79, v94, v79
	v_mul_f16_e32 v97, v60, v80
	v_mul_f16_e32 v99, v61, v81
	v_mul_f16_e32 v80, v96, v80
	v_mul_f16_e32 v81, v98, v81
	v_mul_f16_e32 v101, v62, v82
	v_mul_f16_e32 v103, v63, v83
	v_mul_f16_e32 v82, v100, v82
	v_mul_f16_e32 v83, v102, v83
	v_fmac_f16_e32 v85, v84, v64
	v_fmac_f16_e32 v87, v86, v65
	v_fma_f16 v54, v54, v64, -v74
	v_fma_f16 v55, v55, v65, -v75
	v_fmac_f16_e32 v89, v88, v66
	v_fmac_f16_e32 v91, v90, v67
	v_fma_f16 v56, v56, v66, -v76
	v_fma_f16 v57, v57, v67, -v77
	;; [unrolled: 4-line block ×5, first 2 shown]
	v_pack_b32_f16 v54, v54, v85
	v_pack_b32_f16 v55, v55, v87
	;; [unrolled: 1-line block ×10, first 2 shown]
	ds_store_2addr_b32 v31, v54, v55 offset0:8 offset1:16
	ds_store_2addr_b32 v31, v56, v57 offset0:24 offset1:32
	;; [unrolled: 1-line block ×5, first 2 shown]
.LBB0_9:
	s_wait_alu 0xfffe
	s_or_b32 exec_lo, exec_lo, s0
	global_wb scope:SCOPE_SE
	s_wait_dscnt 0x0
	s_barrier_signal -1
	s_barrier_wait -1
	global_inv scope:SCOPE_SE
	s_and_saveexec_b32 s0, vcc_lo
	s_cbranch_execz .LBB0_11
; %bb.10:
	ds_load_b32 v45, v30
	ds_load_2addr_b32 v[16:17], v31 offset0:8 offset1:16
	ds_load_2addr_b32 v[14:15], v31 offset0:24 offset1:32
	;; [unrolled: 1-line block ×5, first 2 shown]
	s_wait_dscnt 0x5
	v_lshrrev_b32_e32 v46, 16, v45
	s_wait_dscnt 0x4
	v_lshrrev_b32_e32 v53, 16, v16
	v_lshrrev_b32_e32 v52, 16, v17
	s_wait_dscnt 0x3
	v_lshrrev_b32_e32 v51, 16, v14
	;; [unrolled: 3-line block ×5, first 2 shown]
	v_lshrrev_b32_e32 v34, 16, v9
.LBB0_11:
	s_wait_alu 0xfffe
	s_or_b32 exec_lo, exec_lo, s0
	global_wb scope:SCOPE_SE
	s_barrier_signal -1
	s_barrier_wait -1
	global_inv scope:SCOPE_SE
	s_and_saveexec_b32 s0, vcc_lo
	s_cbranch_execz .LBB0_13
; %bb.12:
	v_sub_f16_e32 v54, v16, v9
	v_add_f16_e32 v55, v34, v53
	v_sub_f16_e32 v56, v17, v8
	v_add_f16_e32 v57, v35, v52
	v_sub_f16_e32 v58, v14, v11
	v_mul_f16_e32 v59, 0xba0c, v54
	v_add_f16_e32 v60, v36, v51
	v_mul_f16_e32 v63, 0x3beb, v56
	v_sub_f16_e32 v61, v15, v10
	v_mul_f16_e32 v67, 0xb853, v58
	v_fmamk_f16 v64, v55, 0xb93d, v59
	v_sub_f16_e32 v69, v53, v34
	v_fmamk_f16 v68, v57, 0xb08e, v63
	v_add_f16_e32 v62, v47, v50
	v_add_f16_e32 v70, v9, v16
	;; [unrolled: 1-line block ×3, first 2 shown]
	v_mul_f16_e32 v71, 0xb482, v61
	v_fmamk_f16 v72, v60, 0x3abb, v67
	v_sub_f16_e32 v73, v52, v35
	v_sub_f16_e32 v65, v12, v13
	v_add_f16_e32 v64, v68, v64
	v_mul_f16_e32 v68, 0xba0c, v69
	v_add_f16_e32 v74, v8, v17
	v_fmamk_f16 v75, v62, 0xbbad, v71
	v_mul_f16_e32 v76, 0x3beb, v73
	v_add_f16_e32 v64, v72, v64
	v_fma_f16 v72, v70, 0xb93d, -v68
	v_sub_f16_e32 v77, v51, v36
	v_add_f16_e32 v66, v48, v49
	v_mul_f16_e32 v78, 0x3b47, v65
	v_add_f16_e32 v64, v75, v64
	v_add_f16_e32 v72, v45, v72
	v_fma_f16 v75, v74, 0xb08e, -v76
	v_add_f16_e32 v79, v11, v14
	v_mul_f16_e32 v80, 0xb853, v77
	v_fmamk_f16 v81, v66, 0x36a6, v78
	v_add_f16_e32 v83, v10, v15
	v_add_f16_e32 v72, v75, v72
	v_sub_f16_e32 v75, v50, v47
	v_fma_f16 v82, v79, 0x3abb, -v80
	v_add_f16_e32 v64, v81, v64
	v_mul_f16_e32 v81, 0xb482, v54
	v_mul_f16_e32 v86, 0x3853, v56
	v_mul_f16_e32 v84, 0xb482, v75
	v_add_f16_e32 v72, v82, v72
	v_sub_f16_e32 v82, v49, v48
	v_fmamk_f16 v85, v55, 0xbbad, v81
	v_add_f16_e32 v88, v13, v12
	v_fma_f16 v87, v83, 0xbbad, -v84
	v_fmamk_f16 v90, v57, 0x3abb, v86
	v_mul_f16_e32 v89, 0x3b47, v82
	v_add_f16_e32 v85, v46, v85
	v_mul_f16_e32 v91, 0xba0c, v58
	v_add_f16_e32 v72, v87, v72
	v_mul_f16_e32 v92, 0xb482, v69
	v_fma_f16 v87, v88, 0x36a6, -v89
	v_fma_f16 v59, v55, 0xb93d, -v59
	v_add_f16_e32 v85, v90, v85
	v_fmamk_f16 v90, v60, 0xb93d, v91
	v_mul_f16_e32 v93, 0x3b47, v61
	v_add_f16_e32 v72, v87, v72
	v_fma_f16 v87, v70, 0xbbad, -v92
	v_mul_f16_e32 v94, 0x3853, v73
	v_add_f16_e32 v59, v46, v59
	v_fma_f16 v63, v57, 0xb08e, -v63
	v_add_f16_e32 v85, v90, v85
	v_fmamk_f16 v90, v62, 0x36a6, v93
	v_mul_f16_e32 v95, 0xbbeb, v65
	v_add_f16_e32 v87, v45, v87
	v_fma_f16 v96, v74, 0x3abb, -v94
	v_mul_f16_e32 v97, 0xba0c, v77
	v_add_f16_e32 v59, v63, v59
	v_fma_f16 v63, v60, 0x3abb, -v67
	v_add_f16_e32 v85, v90, v85
	v_fmamk_f16 v90, v66, 0xb08e, v95
	v_fma_f16 v81, v55, 0xbbad, -v81
	v_add_f16_e32 v87, v96, v87
	v_fma_f16 v96, v79, 0xb93d, -v97
	v_mul_f16_e32 v98, 0x3b47, v75
	v_add_f16_e32 v59, v63, v59
	v_fma_f16 v63, v62, 0xbbad, -v71
	v_add_f16_e32 v16, v16, v45
	v_add_f16_e32 v85, v90, v85
	;; [unrolled: 1-line block ×3, first 2 shown]
	v_fma_f16 v86, v57, 0x3abb, -v86
	v_add_f16_e32 v87, v96, v87
	v_fma_f16 v90, v83, 0x36a6, -v98
	v_mul_f16_e32 v96, 0xbbeb, v82
	v_fmac_f16_e32 v92, 0xbbad, v70
	v_add_f16_e32 v59, v63, v59
	v_fma_f16 v78, v66, 0x36a6, -v78
	v_add_f16_e32 v16, v17, v16
	v_fmac_f16_e32 v68, 0xb93d, v70
	v_add_f16_e32 v81, v86, v81
	v_fma_f16 v86, v60, 0xb93d, -v91
	v_add_f16_e32 v87, v90, v87
	v_fma_f16 v90, v88, 0xb08e, -v96
	v_add_f16_e32 v91, v45, v92
	v_fmac_f16_e32 v94, 0x3abb, v74
	v_add_f16_e32 v59, v78, v59
	v_mul_f16_e32 v78, 0xbbeb, v69
	v_mul_f16_e32 v99, 0xbb47, v69
	v_mul_f16_e32 v69, 0xb853, v69
	v_add_f16_e32 v14, v14, v16
	v_add_f16_e32 v16, v53, v46
	;; [unrolled: 1-line block ×3, first 2 shown]
	v_fmac_f16_e32 v76, 0xb08e, v74
	v_add_f16_e32 v87, v90, v87
	v_add_f16_e32 v90, v94, v91
	v_mul_f16_e32 v91, 0x3482, v73
	v_mul_f16_e32 v103, 0xba0c, v73
	v_fmamk_f16 v53, v70, 0x3abb, v69
	v_mul_f16_e32 v73, 0xbb47, v73
	v_add_f16_e32 v14, v15, v14
	v_add_f16_e32 v15, v52, v16
	v_fmac_f16_e32 v97, 0xb93d, v79
	v_add_f16_e32 v68, v76, v68
	v_fmac_f16_e32 v80, 0x3abb, v79
	v_add_f16_e32 v16, v45, v53
	v_fmamk_f16 v52, v74, 0x36a6, v73
	v_mul_f16_e32 v53, 0xbbeb, v77
	v_add_f16_e32 v12, v12, v14
	v_add_f16_e32 v14, v51, v15
	;; [unrolled: 1-line block ×3, first 2 shown]
	v_fmac_f16_e32 v98, 0x36a6, v83
	v_add_f16_e32 v68, v80, v68
	v_fmac_f16_e32 v84, 0xbbad, v83
	v_add_f16_e32 v16, v52, v16
	v_fmamk_f16 v51, v79, 0xb08e, v53
	v_add_f16_e32 v12, v13, v12
	v_add_f16_e32 v13, v50, v14
	v_mul_f16_e32 v14, 0xba0c, v75
	v_add_f16_e32 v67, v98, v90
	v_add_f16_e32 v68, v84, v68
	v_fmac_f16_e32 v89, 0x36a6, v88
	v_fmamk_f16 v90, v70, 0xb08e, v78
	v_add_f16_e32 v81, v86, v81
	v_fma_f16 v86, v62, 0x36a6, -v93
	v_mul_f16_e32 v71, 0xb08e, v55
	v_add_f16_e32 v16, v51, v16
	v_add_f16_e32 v10, v10, v12
	;; [unrolled: 1-line block ×3, first 2 shown]
	v_fmamk_f16 v13, v83, 0xb93d, v14
	v_mul_f16_e32 v49, 0xb482, v82
	v_add_f16_e32 v68, v89, v68
	v_add_f16_e32 v89, v45, v90
	v_fmamk_f16 v90, v74, 0xbbad, v91
	v_mul_f16_e32 v92, 0x3b47, v77
	v_add_f16_e32 v81, v86, v81
	v_fma_f16 v86, v66, 0xb08e, -v95
	v_fmamk_f16 v63, v54, 0x3beb, v71
	v_mul_f16_e32 v76, 0xbbad, v57
	v_add_f16_e32 v10, v11, v10
	v_add_f16_e32 v11, v48, v12
	;; [unrolled: 1-line block ×3, first 2 shown]
	v_fmamk_f16 v13, v88, 0xbbad, v49
	v_add_f16_e32 v89, v90, v89
	v_fmamk_f16 v90, v79, 0x36a6, v92
	v_mul_f16_e32 v94, 0xb853, v75
	v_add_f16_e32 v81, v86, v81
	v_add_f16_e32 v63, v46, v63
	v_fmamk_f16 v80, v56, 0xb482, v76
	v_mul_f16_e32 v86, 0x36a6, v60
	v_add_f16_e32 v8, v8, v10
	v_add_f16_e32 v10, v47, v11
	;; [unrolled: 1-line block ×3, first 2 shown]
	v_fma_f16 v12, v70, 0xb08e, -v78
	v_add_f16_e32 v89, v90, v89
	v_fmamk_f16 v90, v83, 0x3abb, v94
	v_add_f16_e32 v63, v80, v63
	v_fmamk_f16 v80, v58, 0xbb47, v86
	v_mul_f16_e32 v84, 0x3abb, v62
	v_add_f16_e32 v12, v45, v12
	v_fma_f16 v13, v74, 0xbbad, -v91
	v_add_f16_e32 v89, v90, v89
	v_mul_f16_e32 v90, 0xba0c, v82
	v_add_f16_e32 v63, v80, v63
	v_fmamk_f16 v80, v61, 0x3853, v84
	v_add_f16_e32 v12, v13, v12
	v_fma_f16 v13, v79, 0x36a6, -v92
	v_fmamk_f16 v101, v88, 0xb93d, v90
	v_fmamk_f16 v102, v70, 0x36a6, v99
	v_fmac_f16_e32 v96, 0xb08e, v88
	v_add_f16_e32 v63, v80, v63
	v_mul_f16_e32 v80, 0xb93d, v66
	v_mul_f16_e32 v93, 0x36a6, v55
	v_add_f16_e32 v12, v13, v12
	v_fma_f16 v13, v83, 0x3abb, -v94
	v_add_f16_e32 v89, v101, v89
	v_add_f16_e32 v101, v45, v102
	v_fmamk_f16 v102, v74, 0xb93d, v103
	v_mul_f16_e32 v104, 0x3482, v77
	v_mul_f16_e32 v55, 0x3abb, v55
	v_add_f16_e32 v8, v9, v8
	v_add_f16_e32 v9, v36, v10
	;; [unrolled: 1-line block ×3, first 2 shown]
	v_fmamk_f16 v95, v65, 0x3a0c, v80
	v_fmamk_f16 v96, v54, 0x3b47, v93
	v_mul_f16_e32 v97, 0xb93d, v57
	v_add_f16_e32 v12, v13, v12
	v_fma_f16 v13, v88, 0xb93d, -v90
	v_add_f16_e32 v101, v102, v101
	v_fmamk_f16 v102, v79, 0xbbad, v104
	v_mul_f16_e32 v105, 0x3beb, v75
	v_fmamk_f16 v107, v54, 0x3853, v55
	v_mul_f16_e32 v57, 0x36a6, v57
	v_add_f16_e32 v9, v35, v9
	v_add_f16_e32 v63, v95, v63
	;; [unrolled: 1-line block ×3, first 2 shown]
	v_fmamk_f16 v96, v56, 0x3a0c, v97
	v_mul_f16_e32 v98, 0xbbad, v60
	v_fmac_f16_e32 v71, 0xbbeb, v54
	v_fmac_f16_e32 v93, 0xbb47, v54
	v_add_f16_e32 v12, v13, v12
	v_fma_f16 v13, v70, 0x36a6, -v99
	v_add_f16_e32 v101, v102, v101
	v_fmamk_f16 v102, v83, 0xb08e, v105
	v_mul_f16_e32 v108, 0x3853, v82
	v_add_f16_e32 v107, v46, v107
	v_fmamk_f16 v109, v56, 0x3b47, v57
	v_mul_f16_e32 v60, 0xb08e, v60
	v_add_f16_e32 v9, v34, v9
	v_fmac_f16_e32 v55, 0xb853, v54
	v_fma_f16 v34, v70, 0x3abb, -v69
	v_add_f16_e32 v95, v96, v95
	v_fmamk_f16 v96, v58, 0xb482, v98
	v_mul_f16_e32 v100, 0xb08e, v62
	v_add_f16_e32 v10, v46, v71
	v_fmac_f16_e32 v76, 0x3482, v56
	v_add_f16_e32 v16, v46, v93
	v_fmac_f16_e32 v97, 0xba0c, v56
	v_add_f16_e32 v13, v45, v13
	v_fma_f16 v35, v74, 0xb93d, -v103
	v_add_f16_e32 v101, v102, v101
	v_fmamk_f16 v102, v88, 0x3abb, v108
	v_add_f16_e32 v107, v109, v107
	v_fmamk_f16 v109, v58, 0x3beb, v60
	v_mul_f16_e32 v62, 0xb93d, v62
	v_add_f16_e32 v36, v46, v55
	v_fmac_f16_e32 v57, 0xbb47, v56
	v_add_f16_e32 v34, v45, v34
	v_fma_f16 v45, v74, 0x36a6, -v73
	v_add_f16_e32 v95, v96, v95
	v_fmamk_f16 v96, v61, 0xbbeb, v100
	v_add_f16_e32 v10, v76, v10
	v_fmac_f16_e32 v86, 0x3b47, v58
	v_add_f16_e32 v16, v97, v16
	v_fmac_f16_e32 v98, 0x3482, v58
	v_add_f16_e32 v13, v35, v13
	v_fma_f16 v35, v79, 0xbbad, -v104
	v_add_f16_e32 v17, v102, v101
	v_add_f16_e32 v101, v109, v107
	v_fmamk_f16 v102, v61, 0x3a0c, v62
	v_mul_f16_e32 v50, 0xbbad, v66
	v_add_f16_e32 v36, v57, v36
	v_fmac_f16_e32 v60, 0xbbeb, v58
	v_add_f16_e32 v34, v45, v34
	v_fma_f16 v45, v79, 0xb08e, -v53
	v_add_f16_e32 v95, v96, v95
	v_mul_f16_e32 v96, 0x3abb, v66
	v_add_f16_e32 v10, v86, v10
	v_fmac_f16_e32 v84, 0xb853, v61
	v_add_f16_e32 v16, v98, v16
	v_fmac_f16_e32 v100, 0x3beb, v61
	v_add_f16_e32 v13, v35, v13
	v_fma_f16 v35, v83, 0xb08e, -v105
	v_add_f16_e32 v15, v102, v101
	v_fmamk_f16 v51, v65, 0x3482, v50
	v_add_f16_e32 v36, v60, v36
	v_fmac_f16_e32 v62, 0xba0c, v61
	v_add_f16_e32 v34, v45, v34
	v_fma_f16 v14, v83, 0xb93d, -v14
	v_fmamk_f16 v106, v65, 0xb853, v96
	v_add_f16_e32 v10, v84, v10
	v_fmac_f16_e32 v80, 0xba0c, v65
	v_add_f16_e32 v16, v100, v16
	v_fmac_f16_e32 v96, 0x3853, v65
	v_add_f16_e32 v13, v35, v13
	v_fma_f16 v35, v88, 0x3abb, -v108
	v_add_f16_e32 v15, v51, v15
	v_add_f16_e32 v36, v62, v36
	v_fmac_f16_e32 v50, 0xb482, v65
	v_add_f16_e32 v14, v14, v34
	v_fma_f16 v34, v88, 0xbbad, -v49
	v_and_b32_e32 v33, 0xffff, v33
	v_add_f16_e32 v95, v106, v95
	v_add_f16_e32 v10, v80, v10
	;; [unrolled: 1-line block ×6, first 2 shown]
	v_lshl_add_u32 v32, v33, 2, v32
	v_pack_b32_f16 v11, v11, v15
	v_pack_b32_f16 v8, v8, v9
	;; [unrolled: 1-line block ×11, first 2 shown]
	ds_store_2addr_b32 v32, v8, v11 offset1:1
	ds_store_2addr_b32 v32, v15, v9 offset0:2 offset1:3
	ds_store_2addr_b32 v32, v33, v17 offset0:4 offset1:5
	;; [unrolled: 1-line block ×4, first 2 shown]
	ds_store_b32 v32, v12 offset:40
.LBB0_13:
	s_wait_alu 0xfffe
	s_or_b32 exec_lo, exec_lo, s0
	global_wb scope:SCOPE_SE
	s_wait_dscnt 0x0
	s_barrier_signal -1
	s_barrier_wait -1
	global_inv scope:SCOPE_SE
	ds_load_2addr_b32 v[8:9], v37 offset1:11
	ds_load_2addr_b32 v[10:11], v37 offset0:22 offset1:33
	ds_load_2addr_b32 v[12:13], v37 offset0:44 offset1:55
	;; [unrolled: 1-line block ×3, first 2 shown]
	s_wait_dscnt 0x3
	v_lshrrev_b32_e32 v17, 16, v9
	s_wait_dscnt 0x2
	v_lshrrev_b32_e32 v32, 16, v10
	v_lshrrev_b32_e32 v33, 16, v11
	s_wait_dscnt 0x1
	v_lshrrev_b32_e32 v34, 16, v12
	;; [unrolled: 3-line block ×3, first 2 shown]
	v_mul_f16_e32 v45, v44, v9
	v_mul_f16_e32 v46, v43, v10
	v_mul_f16_e32 v47, v42, v11
	v_mul_f16_e32 v48, v41, v12
	v_mul_f16_e32 v44, v44, v17
	v_mul_f16_e32 v43, v43, v32
	v_mul_f16_e32 v42, v42, v33
	v_mul_f16_e32 v41, v41, v34
	v_lshrrev_b32_e32 v37, 16, v15
	v_fma_f16 v17, v0, v17, -v45
	v_fma_f16 v32, v1, v32, -v46
	;; [unrolled: 1-line block ×3, first 2 shown]
	v_mul_f16_e32 v45, v40, v35
	v_fmac_f16_e32 v44, v0, v9
	v_fmac_f16_e32 v43, v1, v10
	;; [unrolled: 1-line block ×3, first 2 shown]
	v_mul_f16_e32 v0, v40, v13
	v_fmac_f16_e32 v41, v3, v12
	v_fma_f16 v1, v3, v34, -v48
	v_mul_f16_e32 v2, v39, v36
	v_mul_f16_e32 v3, v39, v14
	;; [unrolled: 1-line block ×3, first 2 shown]
	v_lshrrev_b32_e32 v16, 16, v8
	v_fmac_f16_e32 v45, v4, v13
	v_fma_f16 v0, v4, v35, -v0
	v_mul_f16_e32 v4, v38, v37
	v_fmac_f16_e32 v2, v5, v14
	v_fma_f16 v3, v5, v36, -v3
	v_fma_f16 v5, v6, v37, -v9
	v_sub_f16_e32 v10, v8, v41
	v_fmac_f16_e32 v4, v6, v15
	v_sub_f16_e32 v1, v16, v1
	v_sub_f16_e32 v3, v32, v3
	;; [unrolled: 1-line block ×4, first 2 shown]
	v_fma_f16 v6, v8, 2.0, -v10
	v_sub_f16_e32 v2, v43, v2
	v_sub_f16_e32 v8, v44, v45
	v_fma_f16 v9, v16, 2.0, -v1
	v_fma_f16 v12, v32, 2.0, -v3
	v_sub_f16_e32 v4, v42, v4
	v_fma_f16 v14, v17, 2.0, -v0
	v_fma_f16 v16, v33, 2.0, -v5
	;; [unrolled: 1-line block ×3, first 2 shown]
	v_sub_f16_e32 v12, v9, v12
	v_fma_f16 v15, v42, 2.0, -v4
	v_add_f16_e32 v3, v10, v3
	v_sub_f16_e32 v2, v1, v2
	v_add_f16_e32 v5, v8, v5
	v_sub_f16_e32 v16, v14, v16
	v_sub_f16_e32 v4, v0, v4
	v_fma_f16 v13, v44, 2.0, -v8
	v_fma_f16 v9, v9, 2.0, -v12
	;; [unrolled: 1-line block ×7, first 2 shown]
	v_sub_f16_e32 v11, v6, v11
	v_sub_f16_e32 v15, v13, v15
	v_fmamk_f16 v17, v8, 0xb9a8, v10
	v_sub_f16_e32 v14, v9, v14
	v_fmamk_f16 v32, v0, 0xb9a8, v1
	v_fma_f16 v6, v6, 2.0, -v11
	v_fma_f16 v13, v13, 2.0, -v15
	v_fmac_f16_e32 v17, 0x39a8, v0
	v_fma_f16 v0, v9, 2.0, -v14
	v_fmac_f16_e32 v32, 0xb9a8, v8
	v_fmamk_f16 v8, v5, 0x39a8, v3
	v_fmamk_f16 v9, v4, 0x39a8, v2
	v_sub_f16_e32 v13, v6, v13
	v_add_f16_e32 v16, v11, v16
	v_sub_f16_e32 v15, v12, v15
	v_fmac_f16_e32 v8, 0x39a8, v4
	v_fmac_f16_e32 v9, 0xb9a8, v5
	v_fma_f16 v6, v6, 2.0, -v13
	v_fma_f16 v10, v10, 2.0, -v17
	;; [unrolled: 1-line block ×7, first 2 shown]
	v_pack_b32_f16 v0, v6, v0
	v_pack_b32_f16 v1, v10, v1
	;; [unrolled: 1-line block ×8, first 2 shown]
	ds_store_2addr_b32 v31, v0, v1 offset1:11
	ds_store_2addr_b32 v31, v4, v2 offset0:22 offset1:33
	ds_store_2addr_b32 v31, v3, v5 offset0:44 offset1:55
	;; [unrolled: 1-line block ×3, first 2 shown]
	global_wb scope:SCOPE_SE
	s_wait_dscnt 0x0
	s_barrier_signal -1
	s_barrier_wait -1
	global_inv scope:SCOPE_SE
	s_and_b32 exec_lo, exec_lo, vcc_lo
	s_cbranch_execz .LBB0_15
; %bb.14:
	s_clause 0x6
	global_load_b32 v4, v24, s[24:25]
	global_load_b32 v5, v24, s[24:25] offset:32
	global_load_b32 v6, v24, s[24:25] offset:64
	;; [unrolled: 1-line block ×6, first 2 shown]
	v_mad_co_u64_u32 v[34:35], null, s20, v27, 0
	ds_load_b32 v45, v30
	v_mad_co_u64_u32 v[14:15], null, s22, v7, 0
	v_mad_co_u64_u32 v[16:17], null, s20, v26, 0
	;; [unrolled: 1-line block ×4, first 2 shown]
	v_mov_b32_e32 v30, v35
	ds_load_2addr_b32 v[38:39], v31 offset0:24 offset1:32
	ds_load_2addr_b32 v[32:33], v31 offset0:8 offset1:16
	;; [unrolled: 1-line block ×3, first 2 shown]
	v_mov_b32_e32 v35, v37
	s_mov_b32 s26, 0x745d1746
	v_mov_b32_e32 v37, v41
	v_mad_co_u64_u32 v[41:42], null, s23, v7, v[15:16]
	v_mad_co_u64_u32 v[42:43], null, s21, v26, v[17:18]
	;; [unrolled: 1-line block ×4, first 2 shown]
	s_wait_dscnt 0x3
	v_lshrrev_b32_e32 v7, 16, v45
	v_mov_b32_e32 v15, v41
	v_mov_b32_e32 v17, v42
	s_mov_b32 s27, 0x3f8745d1
	v_mov_b32_e32 v35, v26
	s_clause 0x2
	global_load_b32 v10, v24, s[24:25] offset:224
	global_load_b32 v11, v24, s[24:25] offset:256
	;; [unrolled: 1-line block ×3, first 2 shown]
	s_wait_dscnt 0x2
	v_mad_co_u64_u32 v[28:29], null, s21, v29, v[37:38]
	s_wait_dscnt 0x1
	v_lshrrev_b32_e32 v29, 16, v32
	v_mov_b32_e32 v37, v27
	v_lshrrev_b32_e32 v30, 16, v33
	v_lshrrev_b32_e32 v43, 16, v38
	;; [unrolled: 1-line block ×3, first 2 shown]
	s_wait_dscnt 0x0
	v_lshrrev_b32_e32 v47, 16, v2
	v_mov_b32_e32 v41, v28
	v_lshlrev_b64_e32 v[14:15], 2, v[14:15]
	v_lshlrev_b64_e32 v[16:17], 2, v[16:17]
	;; [unrolled: 1-line block ×4, first 2 shown]
	v_lshrrev_b32_e32 v56, 16, v3
	v_mad_co_u64_u32 v[0:1], null, s20, v25, 0
	s_wait_loadcnt 0x9
	v_lshrrev_b32_e32 v26, 16, v4
	s_wait_loadcnt 0x8
	v_lshrrev_b32_e32 v27, 16, v5
	;; [unrolled: 2-line block ×5, first 2 shown]
	v_mul_f16_e32 v42, v7, v26
	v_mul_f16_e32 v26, v45, v26
	v_mul_f16_e32 v51, v30, v28
	v_mul_f16_e32 v28, v33, v28
	s_wait_loadcnt 0x4
	v_lshrrev_b32_e32 v50, 16, v44
	v_fmac_f16_e32 v42, v45, v4
	v_mul_f16_e32 v45, v29, v27
	v_fma_f16 v4, v4, v7, -v26
	v_mul_f16_e32 v7, v32, v27
	v_fmac_f16_e32 v51, v33, v6
	v_cvt_f32_f16_e32 v26, v42
	v_fmac_f16_e32 v45, v32, v5
	v_cvt_f32_f16_e32 v27, v4
	v_fma_f16 v7, v5, v29, -v7
	v_fma_f16 v30, v6, v30, -v28
	v_cvt_f64_f32_e32 v[4:5], v26
	v_cvt_f32_f16_e32 v29, v45
	v_cvt_f64_f32_e32 v[26:27], v27
	v_cvt_f32_f16_e32 v32, v7
	v_mul_f16_e32 v42, v43, v48
	v_mul_f16_e32 v45, v38, v48
	v_cvt_f64_f32_e32 v[6:7], v29
	v_mul_f16_e32 v48, v46, v49
	v_cvt_f64_f32_e32 v[28:29], v32
	v_cvt_f32_f16_e32 v32, v51
	v_fmac_f16_e32 v42, v38, v8
	v_cvt_f32_f16_e32 v30, v30
	v_mul_f16_e32 v49, v39, v49
	v_fma_f16 v8, v8, v43, -v45
	v_cvt_f64_f32_e32 v[32:33], v32
	v_cvt_f32_f16_e32 v42, v42
	v_fmac_f16_e32 v48, v39, v13
	v_cvt_f64_f32_e32 v[38:39], v30
	v_mul_f16_e32 v51, v47, v50
	v_mul_f16_e32 v30, v2, v50
	v_cvt_f64_f32_e32 v[42:43], v42
	v_cvt_f32_f16_e32 v8, v8
	v_cvt_f32_f16_e32 v48, v48
	v_fma_f16 v13, v13, v46, -v49
	v_fmac_f16_e32 v51, v2, v44
	v_fma_f16 v2, v44, v47, -v30
	v_cvt_f64_f32_e32 v[44:45], v8
	v_cvt_f64_f32_e32 v[46:47], v48
	v_cvt_f32_f16_e32 v8, v13
	v_cvt_f32_f16_e32 v13, v51
	;; [unrolled: 1-line block ×3, first 2 shown]
	s_wait_loadcnt 0x3
	v_lshrrev_b32_e32 v30, 16, v12
	v_cvt_f64_f32_e32 v[48:49], v8
	v_cvt_f64_f32_e32 v[50:51], v13
	;; [unrolled: 1-line block ×3, first 2 shown]
	v_add_co_u32 v2, vcc_lo, s8, v14
	v_mul_f64_e32 v[54:55], s[26:27], v[4:5]
	v_add_co_ci_u32_e32 v8, vcc_lo, s9, v15, vcc_lo
	v_mul_f64_e32 v[26:27], s[26:27], v[26:27]
	v_lshlrev_b64_e32 v[4:5], 2, v[40:41]
	v_add_co_u32 v15, vcc_lo, v2, v16
	v_mul_f64_e32 v[13:14], s[26:27], v[6:7]
	v_mul_f64_e32 v[28:29], s[26:27], v[28:29]
	s_wait_alu 0xfffd
	v_add_co_ci_u32_e32 v16, vcc_lo, v8, v17, vcc_lo
	v_add_co_u32 v34, vcc_lo, v2, v34
	s_wait_alu 0xfffd
	v_add_co_ci_u32_e32 v35, vcc_lo, v8, v35, vcc_lo
	v_mul_f64_e32 v[32:33], s[26:27], v[32:33]
	v_add_co_u32 v36, vcc_lo, v2, v36
	v_mul_f64_e32 v[38:39], s[26:27], v[38:39]
	s_wait_alu 0xfffd
	v_add_co_ci_u32_e32 v37, vcc_lo, v8, v37, vcc_lo
	v_mul_f64_e32 v[40:41], s[26:27], v[42:43]
	v_add_co_u32 v4, vcc_lo, v2, v4
	s_wait_alu 0xfffd
	v_add_co_ci_u32_e32 v5, vcc_lo, v8, v5, vcc_lo
	v_mul_f64_e32 v[42:43], s[26:27], v[44:45]
	v_mul_f64_e32 v[44:45], s[26:27], v[46:47]
	v_mul_f16_e32 v6, v56, v30
	v_mul_f64_e32 v[48:49], s[26:27], v[48:49]
	v_mul_f64_e32 v[50:51], s[26:27], v[50:51]
	s_delay_alu instid0(VALU_DEP_3) | instskip(SKIP_3) | instid1(VALU_DEP_4)
	v_fmac_f16_e32 v6, v3, v12
	v_mul_f16_e32 v3, v3, v30
	v_and_or_b32 v17, 0x1ff, v55, v54
	v_lshrrev_b32_e32 v54, 16, v55
	v_cvt_f32_f16_e32 v6, v6
	v_and_or_b32 v26, 0x1ff, v27, v26
	v_bfe_u32 v57, v27, 20, 11
	v_cmp_ne_u32_e32 vcc_lo, 0, v17
	v_fma_f16 v3, v12, v56, -v3
	v_and_or_b32 v13, 0x1ff, v14, v13
	v_and_or_b32 v28, 0x1ff, v29, v28
	v_cvt_f64_f32_e32 v[46:47], v6
	s_wait_alu 0xfffd
	v_cndmask_b32_e64 v17, 0, 1, vcc_lo
	v_cmp_ne_u32_e32 vcc_lo, 0, v26
	v_mul_f64_e32 v[6:7], s[26:27], v[52:53]
	v_lshrrev_b32_e32 v52, 8, v55
	v_lshrrev_b32_e32 v60, 8, v29
	v_and_or_b32 v32, 0x1ff, v33, v32
	s_wait_alu 0xfffd
	v_cndmask_b32_e64 v26, 0, 1, vcc_lo
	v_cmp_ne_u32_e32 vcc_lo, 0, v13
	v_and_or_b32 v38, 0x1ff, v39, v38
	v_lshrrev_b32_e32 v64, 8, v39
	v_bfe_u32 v65, v39, 20, 11
	v_and_or_b32 v40, 0x1ff, v41, v40
	s_wait_alu 0xfffd
	v_cndmask_b32_e64 v13, 0, 1, vcc_lo
	v_cmp_ne_u32_e32 vcc_lo, 0, v28
	v_lshrrev_b32_e32 v66, 8, v41
	v_bfe_u32 v67, v41, 20, 11
	v_and_or_b32 v42, 0x1ff, v43, v42
	v_and_or_b32 v44, 0x1ff, v45, v44
	s_wait_alu 0xfffd
	v_cndmask_b32_e64 v28, 0, 1, vcc_lo
	v_cmp_ne_u32_e32 vcc_lo, 0, v32
	v_lshrrev_b32_e32 v70, 8, v45
	v_bfe_u32 v71, v45, 20, 11
	v_lshrrev_b32_e32 v68, 8, v43
	v_and_or_b32 v48, 0x1ff, v49, v48
	s_wait_alu 0xfffd
	v_cndmask_b32_e64 v32, 0, 1, vcc_lo
	v_cmp_ne_u32_e32 vcc_lo, 0, v38
	v_lshrrev_b32_e32 v72, 8, v49
	v_bfe_u32 v73, v49, 20, 11
	v_bfe_u32 v69, v43, 20, 11
	v_sub_nc_u32_e32 v84, 0x3f1, v71
	s_wait_alu 0xfffd
	v_cndmask_b32_e64 v38, 0, 1, vcc_lo
	v_cmp_ne_u32_e32 vcc_lo, 0, v40
	v_sub_nc_u32_e32 v85, 0x3f1, v73
	v_add_nc_u32_e32 v73, 0xfffffc10, v73
	v_sub_nc_u32_e32 v83, 0x3f1, v69
	v_sub_nc_u32_e32 v82, 0x3f1, v67
	s_wait_alu 0xfffd
	v_cndmask_b32_e64 v40, 0, 1, vcc_lo
	v_cmp_ne_u32_e32 vcc_lo, 0, v42
	v_lshrrev_b32_e32 v62, 8, v33
	v_bfe_u32 v63, v33, 20, 11
	v_sub_nc_u32_e32 v81, 0x3f1, v65
	v_and_or_b32 v40, 0xffe, v66, v40
	s_wait_alu 0xfffd
	v_cndmask_b32_e64 v42, 0, 1, vcc_lo
	v_cmp_ne_u32_e32 vcc_lo, 0, v44
	v_and_or_b32 v38, 0xffe, v64, v38
	v_bfe_u32 v61, v29, 20, 11
	v_and_or_b32 v50, 0x1ff, v51, v50
	v_and_or_b32 v42, 0xffe, v68, v42
	s_wait_alu 0xfffd
	v_cndmask_b32_e64 v44, 0, 1, vcc_lo
	v_cmp_ne_u32_e32 vcc_lo, 0, v48
	v_sub_nc_u32_e32 v80, 0x3f1, v63
	v_and_or_b32 v32, 0xffe, v62, v32
	v_bfe_u32 v53, v55, 20, 11
	v_and_or_b32 v44, 0xffe, v70, v44
	s_wait_alu 0xfffd
	v_cndmask_b32_e64 v48, 0, 1, vcc_lo
	v_lshrrev_b32_e32 v55, 8, v27
	v_lshrrev_b32_e32 v58, 8, v14
	v_bfe_u32 v59, v14, 20, 11
	v_sub_nc_u32_e32 v79, 0x3f1, v61
	v_and_or_b32 v48, 0xffe, v72, v48
	v_cmp_ne_u32_e32 vcc_lo, 0, v50
	v_and_or_b32 v17, 0xffe, v52, v17
	v_and_or_b32 v28, 0xffe, v60, v28
	v_med3_i32 v72, v85, 0, 13
	v_lshl_or_b32 v95, v73, 12, v48
	v_add_nc_u32_e32 v71, 0xfffffc10, v71
	v_sub_nc_u32_e32 v76, 0x3f1, v53
	v_add_nc_u32_e32 v53, 0xfffffc10, v53
	v_sub_nc_u32_e32 v77, 0x3f1, v57
	v_sub_nc_u32_e32 v78, 0x3f1, v59
	v_lshl_or_b32 v93, v71, 12, v44
	v_add_nc_u32_e32 v69, 0xfffffc10, v69
	s_wait_alu 0xfffd
	v_cndmask_b32_e64 v50, 0, 1, vcc_lo
	v_and_or_b32 v26, 0xffe, v55, v26
	v_and_or_b32 v13, 0xffe, v58, v13
	v_med3_i32 v68, v83, 0, 13
	v_lshl_or_b32 v91, v69, 12, v42
	v_add_nc_u32_e32 v67, 0xfffffc10, v67
	v_cmp_ne_u32_e32 vcc_lo, 0, v17
	v_med3_i32 v52, v76, 0, 13
	v_med3_i32 v55, v77, 0, 13
	v_med3_i32 v64, v81, 0, 13
	v_lshl_or_b32 v89, v67, 12, v40
	v_add_nc_u32_e32 v65, 0xfffffc10, v65
	v_or_b32_e32 v76, 0x1000, v17
	v_lshl_or_b32 v77, v53, 12, v17
	s_wait_alu 0xfffd
	v_cndmask_b32_e64 v17, 0, 1, vcc_lo
	v_cmp_ne_u32_e32 vcc_lo, 0, v26
	v_lshl_or_b32 v87, v65, 12, v38
	v_add_nc_u32_e32 v63, 0xfffffc10, v63
	v_med3_i32 v58, v78, 0, 13
	v_med3_i32 v60, v79, 0, 13
	v_or_b32_e32 v78, 0x1000, v26
	v_med3_i32 v62, v80, 0, 13
	v_lshl_or_b32 v85, v63, 12, v32
	v_add_nc_u32_e32 v61, 0xfffffc10, v61
	v_or_b32_e32 v80, 0x1000, v13
	v_bfe_u32 v75, v51, 20, 11
	v_med3_i32 v66, v82, 0, 13
	v_or_b32_e32 v82, 0x1000, v28
	v_lshl_or_b32 v83, v61, 12, v28
	v_add_nc_u32_e32 v59, 0xfffffc10, v59
	v_lshrrev_b32_e32 v74, 8, v51
	v_sub_nc_u32_e32 v86, 0x3f1, v75
	v_med3_i32 v70, v84, 0, 13
	v_or_b32_e32 v84, 0x1000, v32
	v_lshl_or_b32 v81, v59, 12, v13
	v_add_nc_u32_e32 v57, 0xfffffc10, v57
	v_and_or_b32 v50, 0xffe, v74, v50
	v_med3_i32 v74, v86, 0, 13
	v_or_b32_e32 v86, 0x1000, v38
	v_or_b32_e32 v88, 0x1000, v40
	v_lshl_or_b32 v79, v57, 12, v26
	s_wait_alu 0xfffd
	v_cndmask_b32_e64 v26, 0, 1, vcc_lo
	v_cmp_ne_u32_e32 vcc_lo, 0, v13
	v_lshrrev_b32_e32 v97, v52, v76
	v_or_b32_e32 v90, 0x1000, v42
	v_lshrrev_b32_e32 v98, v55, v78
	v_or_b32_e32 v92, 0x1000, v44
	s_wait_alu 0xfffd
	v_cndmask_b32_e64 v13, 0, 1, vcc_lo
	v_cmp_ne_u32_e32 vcc_lo, 0, v28
	v_lshlrev_b32_e32 v52, v52, v97
	v_lshrrev_b32_e32 v99, v58, v80
	v_lshlrev_b32_e32 v55, v55, v98
	v_lshrrev_b32_e32 v100, v60, v82
	s_wait_alu 0xfffd
	v_cndmask_b32_e64 v28, 0, 1, vcc_lo
	v_cmp_ne_u32_e32 vcc_lo, 0, v32
	v_lshlrev_b32_e32 v58, v58, v99
	v_lshrrev_b32_e32 v101, v62, v84
	v_lshlrev_b32_e32 v60, v60, v100
	v_lshrrev_b32_e32 v102, v64, v86
	;; [unrolled: 7-line block ×3, first 2 shown]
	s_wait_alu 0xfffd
	v_cndmask_b32_e64 v38, 0, 1, vcc_lo
	v_cmp_ne_u32_e32 vcc_lo, 0, v40
	v_lshlrev_b32_e32 v66, v66, v103
	v_or_b32_e32 v94, 0x1000, v48
	v_lshrrev_b32_e32 v105, v70, v92
	v_lshl_or_b32 v13, v13, 9, 0x7c00
	s_wait_alu 0xfffd
	v_cndmask_b32_e64 v40, 0, 1, vcc_lo
	v_cmp_ne_u32_e32 vcc_lo, 0, v42
	v_lshrrev_b32_e32 v106, v72, v94
	v_lshlrev_b32_e32 v70, v70, v105
	v_lshl_or_b32 v17, v17, 9, 0x7c00
	v_lshl_or_b32 v38, v38, 9, 0x7c00
	s_wait_alu 0xfffd
	v_cndmask_b32_e64 v42, 0, 1, vcc_lo
	v_cmp_ne_u32_e32 vcc_lo, 0, v44
	v_lshlrev_b32_e32 v72, v72, v106
	v_lshl_or_b32 v26, v26, 9, 0x7c00
	v_lshl_or_b32 v28, v28, 9, 0x7c00
	v_lshrrev_b32_e32 v14, 16, v14
	s_wait_alu 0xfffd
	v_cndmask_b32_e64 v44, 0, 1, vcc_lo
	v_cmp_ne_u32_e32 vcc_lo, v52, v76
	v_lshl_or_b32 v32, v32, 9, 0x7c00
	v_lshrrev_b32_e32 v27, 16, v27
	v_lshrrev_b32_e32 v33, 16, v33
	v_lshl_or_b32 v40, v40, 9, 0x7c00
	s_wait_alu 0xfffd
	v_cndmask_b32_e64 v52, 0, 1, vcc_lo
	v_cmp_ne_u32_e32 vcc_lo, v55, v78
	v_lshrrev_b32_e32 v29, 16, v29
	v_lshrrev_b32_e32 v41, 16, v41
	v_lshl_or_b32 v42, v42, 9, 0x7c00
	v_or_b32_e32 v52, v97, v52
	s_wait_alu 0xfffd
	v_cndmask_b32_e64 v55, 0, 1, vcc_lo
	v_cmp_ne_u32_e32 vcc_lo, v58, v80
	v_lshrrev_b32_e32 v39, 16, v39
	v_or_b32_e32 v96, 0x1000, v50
	v_lshl_or_b32 v44, v44, 9, 0x7c00
	v_or_b32_e32 v55, v98, v55
	s_wait_alu 0xfffd
	v_cndmask_b32_e64 v58, 0, 1, vcc_lo
	v_cmp_ne_u32_e32 vcc_lo, v60, v82
	v_lshlrev_b32_e32 v68, v68, v104
	v_lshrrev_b32_e32 v107, v74, v96
	v_lshrrev_b32_e32 v43, 16, v43
	v_or_b32_e32 v58, v99, v58
	s_wait_alu 0xfffd
	v_cndmask_b32_e64 v60, 0, 1, vcc_lo
	v_cmp_ne_u32_e32 vcc_lo, v62, v84
	v_and_or_b32 v6, 0x1ff, v7, v6
	v_add_nc_u32_e32 v30, 0xfffffc10, v75
	v_cvt_f32_f16_e32 v3, v3
	v_or_b32_e32 v60, v100, v60
	s_wait_alu 0xfffd
	v_cndmask_b32_e64 v62, 0, 1, vcc_lo
	v_cmp_ne_u32_e32 vcc_lo, v64, v86
	s_delay_alu instid0(VALU_DEP_2) | instskip(SKIP_3) | instid1(VALU_DEP_2)
	v_or_b32_e32 v62, v101, v62
	s_wait_alu 0xfffd
	v_cndmask_b32_e64 v64, 0, 1, vcc_lo
	v_cmp_ne_u32_e32 vcc_lo, v66, v88
	v_or_b32_e32 v64, v102, v64
	s_wait_alu 0xfffd
	v_cndmask_b32_e64 v66, 0, 1, vcc_lo
	v_cmp_ne_u32_e32 vcc_lo, v68, v90
	s_delay_alu instid0(VALU_DEP_2) | instskip(SKIP_3) | instid1(VALU_DEP_2)
	v_or_b32_e32 v66, v103, v66
	s_wait_alu 0xfffd
	v_cndmask_b32_e64 v68, 0, 1, vcc_lo
	v_cmp_ne_u32_e32 vcc_lo, v70, v92
	v_or_b32_e32 v68, v104, v68
	s_wait_alu 0xfffd
	v_cndmask_b32_e64 v70, 0, 1, vcc_lo
	v_cmp_ne_u32_e32 vcc_lo, v72, v94
	s_delay_alu instid0(VALU_DEP_2) | instskip(SKIP_3) | instid1(VALU_DEP_2)
	v_or_b32_e32 v70, v105, v70
	s_wait_alu 0xfffd
	v_cndmask_b32_e64 v72, 0, 1, vcc_lo
	v_cmp_gt_i32_e32 vcc_lo, 1, v53
	v_or_b32_e32 v72, v106, v72
	s_wait_alu 0xfffd
	v_cndmask_b32_e32 v52, v77, v52, vcc_lo
	v_cmp_gt_i32_e32 vcc_lo, 1, v57
	s_wait_alu 0xfffd
	s_delay_alu instid0(VALU_DEP_2) | instskip(SKIP_2) | instid1(VALU_DEP_3)
	v_dual_cndmask_b32 v55, v79, v55 :: v_dual_and_b32 v76, 7, v52
	v_cmp_gt_i32_e32 vcc_lo, 1, v59
	v_lshrrev_b32_e32 v52, 2, v52
	v_cmp_eq_u32_e64 s0, 3, v76
	s_wait_alu 0xfffd
	v_dual_cndmask_b32 v58, v81, v58 :: v_dual_and_b32 v77, 7, v55
	v_cmp_gt_i32_e32 vcc_lo, 1, v61
	v_lshrrev_b32_e32 v55, 2, v55
	s_delay_alu instid0(VALU_DEP_3) | instskip(NEXT) | instid1(VALU_DEP_4)
	v_cmp_lt_i32_e64 s1, 5, v77
	v_and_b32_e32 v78, 7, v58
	s_wait_alu 0xfffd
	v_cndmask_b32_e32 v60, v83, v60, vcc_lo
	v_cmp_gt_i32_e32 vcc_lo, 1, v63
	v_cmp_eq_u32_e64 s2, 3, v77
	v_lshrrev_b32_e32 v58, 2, v58
	v_cmp_lt_i32_e64 s3, 5, v78
	s_wait_alu 0xfffd
	v_dual_cndmask_b32 v62, v85, v62 :: v_dual_and_b32 v79, 7, v60
	v_cmp_gt_i32_e32 vcc_lo, 1, v65
	v_cmp_eq_u32_e64 s4, 3, v78
	v_lshrrev_b32_e32 v60, 2, v60
	s_delay_alu instid0(VALU_DEP_4)
	v_cmp_lt_i32_e64 s5, 5, v79
	v_and_b32_e32 v80, 7, v62
	s_wait_alu 0xfffd
	v_cndmask_b32_e32 v64, v87, v64, vcc_lo
	v_cmp_gt_i32_e32 vcc_lo, 1, v67
	v_cmp_eq_u32_e64 s6, 3, v79
	v_lshrrev_b32_e32 v62, 2, v62
	v_cmp_lt_i32_e64 s7, 5, v80
	s_wait_alu 0xfffd
	v_dual_cndmask_b32 v66, v89, v66 :: v_dual_and_b32 v81, 7, v64
	v_cmp_gt_i32_e32 vcc_lo, 1, v69
	v_cmp_eq_u32_e64 s8, 3, v80
	v_lshrrev_b32_e32 v64, 2, v64
	s_delay_alu instid0(VALU_DEP_4)
	;; [unrolled: 14-line block ×3, first 2 shown]
	v_cmp_lt_i32_e64 s13, 5, v83
	v_and_b32_e32 v84, 7, v70
	s_wait_alu 0xfffd
	v_cndmask_b32_e32 v72, v95, v72, vcc_lo
	v_cmp_lt_i32_e32 vcc_lo, 5, v76
	v_cmp_eq_u32_e64 s14, 3, v83
	v_lshrrev_b32_e32 v70, 2, v70
	v_cmp_lt_i32_e64 s15, 5, v84
	v_and_b32_e32 v85, 7, v72
	s_or_b32 vcc_lo, s0, vcc_lo
	v_cmp_eq_u32_e64 s16, 3, v84
	s_wait_alu 0xfffe
	v_add_co_ci_u32_e32 v52, vcc_lo, 0, v52, vcc_lo
	s_or_b32 vcc_lo, s2, s1
	v_cmp_lt_i32_e64 s17, 5, v85
	s_wait_alu 0xfffe
	v_add_co_ci_u32_e32 v55, vcc_lo, 0, v55, vcc_lo
	s_or_b32 vcc_lo, s4, s3
	v_cmp_eq_u32_e64 s18, 3, v85
	s_wait_alu 0xfffe
	v_add_co_ci_u32_e32 v58, vcc_lo, 0, v58, vcc_lo
	s_or_b32 vcc_lo, s6, s5
	v_lshrrev_b32_e32 v72, 2, v72
	s_wait_alu 0xfffe
	v_add_co_ci_u32_e32 v60, vcc_lo, 0, v60, vcc_lo
	s_or_b32 vcc_lo, s8, s7
	v_cmp_eq_u32_e64 s1, 0x40f, v30
	s_wait_alu 0xfffe
	v_add_co_ci_u32_e32 v62, vcc_lo, 0, v62, vcc_lo
	s_or_b32 vcc_lo, s10, s9
	s_wait_alu 0xfffe
	v_add_co_ci_u32_e32 v64, vcc_lo, 0, v64, vcc_lo
	s_or_b32 vcc_lo, s12, s11
	;; [unrolled: 3-line block ×5, first 2 shown]
	s_wait_alu 0xfffe
	v_add_co_ci_u32_e32 v72, vcc_lo, 0, v72, vcc_lo
	v_cmp_gt_i32_e32 vcc_lo, 31, v53
	s_wait_alu 0xfffd
	v_cndmask_b32_e32 v52, 0x7c00, v52, vcc_lo
	v_cmp_gt_i32_e32 vcc_lo, 31, v57
	s_wait_alu 0xfffd
	v_cndmask_b32_e32 v55, 0x7c00, v55, vcc_lo
	;; [unrolled: 3-line block ×9, first 2 shown]
	v_cmp_eq_u32_e32 vcc_lo, 0x40f, v53
	s_wait_alu 0xfffd
	v_cndmask_b32_e32 v17, v52, v17, vcc_lo
	v_cmp_eq_u32_e32 vcc_lo, 0x40f, v57
	s_delay_alu instid0(VALU_DEP_2) | instskip(SKIP_3) | instid1(VALU_DEP_3)
	v_and_or_b32 v17, 0x8000, v54, v17
	s_wait_alu 0xfffd
	v_cndmask_b32_e32 v26, v55, v26, vcc_lo
	v_cmp_eq_u32_e32 vcc_lo, 0x40f, v59
	v_and_b32_e32 v17, 0xffff, v17
	s_delay_alu instid0(VALU_DEP_3) | instskip(SKIP_3) | instid1(VALU_DEP_3)
	v_and_or_b32 v26, 0x8000, v27, v26
	s_wait_alu 0xfffd
	v_cndmask_b32_e32 v13, v58, v13, vcc_lo
	v_cmp_eq_u32_e32 vcc_lo, 0x40f, v61
	v_lshl_or_b32 v17, v26, 16, v17
	s_delay_alu instid0(VALU_DEP_3) | instskip(SKIP_3) | instid1(VALU_DEP_3)
	v_and_or_b32 v13, 0x8000, v14, v13
	s_wait_alu 0xfffd
	v_cndmask_b32_e32 v28, v60, v28, vcc_lo
	v_cmp_eq_u32_e32 vcc_lo, 0x40f, v63
	v_and_b32_e32 v13, 0xffff, v13
	s_delay_alu instid0(VALU_DEP_3) | instskip(SKIP_3) | instid1(VALU_DEP_3)
	v_and_or_b32 v14, 0x8000, v29, v28
	s_wait_alu 0xfffd
	v_cndmask_b32_e32 v32, v62, v32, vcc_lo
	v_cmp_eq_u32_e32 vcc_lo, 0x40f, v65
	v_lshl_or_b32 v13, v14, 16, v13
	s_delay_alu instid0(VALU_DEP_3)
	v_and_or_b32 v27, 0x8000, v33, v32
	s_wait_alu 0xfffd
	v_cndmask_b32_e32 v38, v64, v38, vcc_lo
	v_cmp_eq_u32_e32 vcc_lo, 0x40f, v67
	v_lshl_or_b32 v33, v30, 12, v50
	v_and_b32_e32 v27, 0xffff, v27
	s_delay_alu instid0(VALU_DEP_4) | instskip(SKIP_3) | instid1(VALU_DEP_3)
	v_and_or_b32 v28, 0x8000, v39, v38
	s_wait_alu 0xfffd
	v_cndmask_b32_e32 v40, v66, v40, vcc_lo
	v_cmp_eq_u32_e32 vcc_lo, 0x40f, v69
	v_lshl_or_b32 v14, v28, 16, v27
	s_delay_alu instid0(VALU_DEP_3)
	v_and_or_b32 v29, 0x8000, v41, v40
	s_wait_alu 0xfffd
	v_cndmask_b32_e32 v42, v68, v42, vcc_lo
	v_cmp_eq_u32_e32 vcc_lo, 0x40f, v71
	s_clause 0x2
	global_store_b32 v[15:16], v17, off
	global_store_b32 v[34:35], v13, off
	global_store_b32 v[36:37], v14, off
	v_lshlrev_b32_e32 v14, v74, v107
	v_and_b32_e32 v29, 0xffff, v29
	v_and_or_b32 v32, 0x8000, v43, v42
	s_wait_alu 0xfffd
	v_cndmask_b32_e32 v26, v70, v44, vcc_lo
	v_cmp_ne_u32_e32 vcc_lo, 0, v48
	global_load_b32 v34, v24, s[24:25] offset:320
	v_lshrrev_b32_e32 v17, 16, v45
	v_lshl_or_b32 v28, v32, 16, v29
	v_bfe_u32 v29, v7, 20, 11
	s_wait_alu 0xfffd
	v_cndmask_b32_e64 v13, 0, 1, vcc_lo
	v_cmp_gt_i32_e32 vcc_lo, 31, v73
	v_and_or_b32 v17, 0x8000, v17, v26
	s_delay_alu instid0(VALU_DEP_3)
	v_lshl_or_b32 v27, v13, 9, 0x7c00
	s_wait_alu 0xfffd
	v_cndmask_b32_e32 v16, 0x7c00, v72, vcc_lo
	v_cmp_ne_u32_e32 vcc_lo, v14, v96
	v_lshrrev_b32_e32 v14, 8, v7
	v_and_b32_e32 v17, 0xffff, v17
	s_wait_alu 0xfffd
	v_cndmask_b32_e64 v13, 0, 1, vcc_lo
	v_cmp_ne_u32_e32 vcc_lo, 0, v6
	s_delay_alu instid0(VALU_DEP_2) | instskip(SKIP_4) | instid1(VALU_DEP_3)
	v_or_b32_e32 v32, v107, v13
	s_wait_alu 0xfffd
	v_cndmask_b32_e64 v6, 0, 1, vcc_lo
	v_cvt_f64_f32_e32 v[12:13], v3
	v_cmp_gt_i32_e32 vcc_lo, 1, v30
	v_and_or_b32 v6, 0xffe, v14, v6
	v_sub_nc_u32_e32 v14, 0x3f1, v29
	s_delay_alu instid0(VALU_DEP_2) | instskip(NEXT) | instid1(VALU_DEP_2)
	v_or_b32_e32 v24, 0x1000, v6
	v_med3_i32 v3, v14, 0, 13
	v_mad_co_u64_u32 v[14:15], null, s21, v25, v[1:2]
	s_wait_alu 0xfffd
	v_cndmask_b32_e32 v25, v33, v32, vcc_lo
	v_cmp_eq_u32_e32 vcc_lo, 0x40f, v73
	v_lshrrev_b32_e32 v32, v3, v24
	s_delay_alu instid0(VALU_DEP_3) | instskip(SKIP_2) | instid1(VALU_DEP_3)
	v_and_b32_e32 v33, 7, v25
	s_wait_alu 0xfffd
	v_cndmask_b32_e32 v1, v16, v27, vcc_lo
	v_lshlrev_b32_e32 v3, v3, v32
	v_mul_f64_e32 v[15:16], s[26:27], v[46:47]
	v_lshrrev_b32_e32 v27, 16, v49
	v_cmp_lt_i32_e32 vcc_lo, 5, v33
	s_delay_alu instid0(VALU_DEP_4) | instskip(SKIP_1) | instid1(VALU_DEP_4)
	v_cmp_ne_u32_e64 s0, v3, v24
	v_lshrrev_b32_e32 v24, 2, v25
	v_and_or_b32 v26, 0x8000, v27, v1
	v_dual_mov_b32 v1, v14 :: v_dual_add_nc_u32 v14, 0xfffffc10, v29
	s_wait_alu 0xf1ff
	v_cndmask_b32_e64 v3, 0, 1, s0
	v_cmp_eq_u32_e64 s0, 3, v33
	v_lshl_or_b32 v17, v26, 16, v17
	v_lshlrev_b64_e32 v[0:1], 2, v[0:1]
	v_lshl_or_b32 v25, v14, 12, v6
	v_or_b32_e32 v3, v32, v3
	s_or_b32 vcc_lo, s0, vcc_lo
	s_wait_alu 0xfffe
	v_add_co_ci_u32_e32 v27, vcc_lo, 0, v24, vcc_lo
	v_cmp_gt_i32_e32 vcc_lo, 1, v14
	v_mul_f64_e32 v[12:13], s[26:27], v[12:13]
	s_wait_alu 0xfffd
	v_cndmask_b32_e32 v3, v25, v3, vcc_lo
	v_cmp_ne_u32_e32 vcc_lo, 0, v50
	ds_load_2addr_b32 v[24:25], v31 offset0:56 offset1:64
	v_and_b32_e32 v26, 7, v3
	s_wait_alu 0xfffd
	v_cndmask_b32_e64 v29, 0, 1, vcc_lo
	v_cmp_gt_i32_e32 vcc_lo, 31, v30
	v_lshrrev_b32_e32 v3, 2, v3
	s_wait_loadcnt 0x3
	v_lshrrev_b32_e32 v30, 16, v10
	v_cmp_eq_u32_e64 s0, 3, v26
	v_lshl_or_b32 v29, v29, 9, 0x7c00
	s_wait_alu 0xfffd
	v_cndmask_b32_e32 v27, 0x7c00, v27, vcc_lo
	v_cmp_lt_i32_e32 vcc_lo, 5, v26
	v_and_or_b32 v15, 0x1ff, v16, v15
	v_lshrrev_b32_e32 v32, 8, v16
	v_bfe_u32 v33, v16, 20, 11
	v_cndmask_b32_e64 v26, v27, v29, s1
	s_or_b32 vcc_lo, s0, vcc_lo
	v_lshrrev_b32_e32 v27, 16, v51
	s_wait_alu 0xfffe
	v_add_co_ci_u32_e32 v3, vcc_lo, 0, v3, vcc_lo
	v_cmp_ne_u32_e32 vcc_lo, 0, v6
	s_wait_dscnt 0x0
	v_lshrrev_b32_e32 v29, 16, v24
	v_and_or_b32 v37, 0x8000, v27, v26
	v_lshrrev_b32_e32 v16, 16, v16
	s_wait_alu 0xfffd
	v_cndmask_b32_e64 v6, 0, 1, vcc_lo
	v_cmp_ne_u32_e32 vcc_lo, 0, v15
	v_mul_f16_e32 v35, v29, v30
	s_delay_alu instid0(VALU_DEP_3)
	v_lshl_or_b32 v6, v6, 9, 0x7c00
	s_wait_alu 0xfffd
	v_cndmask_b32_e64 v15, 0, 1, vcc_lo
	v_cmp_gt_i32_e32 vcc_lo, 31, v14
	v_fmac_f16_e32 v35, v24, v10
	v_and_or_b32 v12, 0x1ff, v13, v12
	s_delay_alu instid0(VALU_DEP_4)
	v_and_or_b32 v32, 0xffe, v32, v15
	s_wait_alu 0xfffd
	v_cndmask_b32_e32 v3, 0x7c00, v3, vcc_lo
	v_sub_nc_u32_e32 v15, 0x3f1, v33
	v_cmp_eq_u32_e32 vcc_lo, 0x40f, v14
	v_or_b32_e32 v36, 0x1000, v32
	s_wait_alu 0xfffd
	v_cndmask_b32_e32 v3, v3, v6, vcc_lo
	v_lshrrev_b32_e32 v6, 16, v7
	v_cvt_f32_f16_e32 v7, v35
	v_med3_i32 v35, v15, 0, 13
	v_cmp_ne_u32_e32 vcc_lo, 0, v12
	v_mad_co_u64_u32 v[14:15], null, s20, v23, 0
	v_and_or_b32 v38, 0x8000, v6, v3
	v_cvt_f64_f32_e32 v[6:7], v7
	v_lshrrev_b32_e32 v39, v35, v36
	v_mul_f16_e32 v3, v24, v30
	v_add_nc_u32_e32 v30, 0xfffffc10, v33
	v_lshrrev_b32_e32 v12, 8, v13
	s_delay_alu instid0(VALU_DEP_4) | instskip(NEXT) | instid1(VALU_DEP_4)
	v_lshlrev_b32_e32 v24, v35, v39
	v_fma_f16 v3, v10, v29, -v3
	s_wait_alu 0xfffd
	v_cndmask_b32_e64 v10, 0, 1, vcc_lo
	v_bfe_u32 v29, v13, 20, 11
	v_lshl_or_b32 v33, v30, 12, v32
	v_cmp_ne_u32_e32 vcc_lo, v24, v36
	v_cvt_f32_f16_e32 v3, v3
	v_and_or_b32 v10, 0xffe, v12, v10
	v_sub_nc_u32_e32 v12, 0x3f1, v29
	v_add_nc_u32_e32 v29, 0xfffffc10, v29
	s_wait_alu 0xfffd
	v_cndmask_b32_e64 v24, 0, 1, vcc_lo
	v_cvt_f64_f32_e32 v[26:27], v3
	v_mov_b32_e32 v3, v15
	v_cmp_gt_i32_e32 vcc_lo, 1, v30
	v_or_b32_e32 v35, 0x1000, v10
	v_or_b32_e32 v15, v39, v24
	v_med3_i32 v12, v12, 0, 13
	v_mad_co_u64_u32 v[23:24], null, s21, v23, v[3:4]
	s_wait_alu 0xfffd
	s_delay_alu instid0(VALU_DEP_3)
	v_cndmask_b32_e32 v24, v33, v15, vcc_lo
	v_add_co_u32 v0, vcc_lo, v2, v0
	v_lshrrev_b32_e32 v33, v12, v35
	s_wait_alu 0xfffd
	v_add_co_ci_u32_e32 v1, vcc_lo, v8, v1, vcc_lo
	v_mov_b32_e32 v15, v23
	v_and_b32_e32 v23, 7, v24
	v_lshlrev_b32_e32 v12, v12, v33
	s_delay_alu instid0(VALU_DEP_3) | instskip(NEXT) | instid1(VALU_DEP_3)
	v_lshlrev_b64_e32 v[14:15], 2, v[14:15]
	v_cmp_lt_i32_e32 vcc_lo, 5, v23
	v_cmp_eq_u32_e64 s0, 3, v23
	v_lshrrev_b32_e32 v23, 2, v24
	v_mul_f64_e32 v[6:7], s[26:27], v[6:7]
	v_cmp_ne_u32_e64 s1, v12, v35
	s_delay_alu instid0(VALU_DEP_4)
	s_or_b32 vcc_lo, s0, vcc_lo
	s_wait_alu 0xfffe
	v_add_co_ci_u32_e32 v23, vcc_lo, 0, v23, vcc_lo
	v_cmp_ne_u32_e32 vcc_lo, 0, v32
	v_cndmask_b32_e64 v12, 0, 1, s1
	v_lshl_or_b32 v32, v29, 12, v10
	s_wait_alu 0xfffd
	v_cndmask_b32_e64 v24, 0, 1, vcc_lo
	v_cmp_gt_i32_e32 vcc_lo, 31, v30
	v_or_b32_e32 v12, v33, v12
	s_delay_alu instid0(VALU_DEP_3)
	v_lshl_or_b32 v35, v24, 9, 0x7c00
	s_wait_alu 0xfffd
	v_cndmask_b32_e32 v33, 0x7c00, v23, vcc_lo
	v_mul_f64_e32 v[23:24], s[26:27], v[26:27]
	v_cmp_gt_i32_e32 vcc_lo, 1, v29
	s_wait_alu 0xfffd
	v_dual_cndmask_b32 v12, v32, v12 :: v_dual_and_b32 v3, 0xffff, v37
	v_add_co_u32 v14, vcc_lo, v2, v14
	s_wait_alu 0xfffd
	v_add_co_ci_u32_e32 v15, vcc_lo, v8, v15, vcc_lo
	v_cmp_eq_u32_e32 vcc_lo, 0x40f, v30
	v_and_b32_e32 v27, 7, v12
	v_lshl_or_b32 v3, v38, 16, v3
	s_clause 0x2
	global_store_b32 v[4:5], v28, off
	global_store_b32 v[0:1], v17, off
	;; [unrolled: 1-line block ×3, first 2 shown]
	s_wait_alu 0xfffd
	v_cndmask_b32_e32 v26, v33, v35, vcc_lo
	v_cmp_lt_i32_e32 vcc_lo, 5, v27
	v_cmp_eq_u32_e64 s0, 3, v27
	v_lshrrev_b32_e32 v0, 2, v12
	v_and_or_b32 v1, 0x1ff, v7, v6
	v_lshrrev_b32_e32 v3, 16, v25
	s_wait_loadcnt 0x2
	v_lshrrev_b32_e32 v4, 16, v11
	s_or_b32 vcc_lo, s0, vcc_lo
	v_and_or_b32 v14, 0x8000, v16, v26
	s_wait_alu 0xfffe
	v_add_co_ci_u32_e32 v0, vcc_lo, 0, v0, vcc_lo
	v_cmp_ne_u32_e32 vcc_lo, 0, v10
	v_mul_f16_e32 v5, v3, v4
	v_lshrrev_b32_e32 v10, 8, v7
	v_bfe_u32 v12, v7, 20, 11
	v_mul_f16_e32 v4, v25, v4
	s_wait_alu 0xfffd
	v_cndmask_b32_e64 v6, 0, 1, vcc_lo
	v_cmp_ne_u32_e32 vcc_lo, 0, v1
	v_fmac_f16_e32 v5, v25, v11
	v_lshrrev_b32_e32 v7, 16, v7
	v_fma_f16 v3, v11, v3, -v4
	v_lshl_or_b32 v6, v6, 9, 0x7c00
	s_wait_alu 0xfffd
	v_cndmask_b32_e64 v1, 0, 1, vcc_lo
	v_cmp_gt_i32_e32 vcc_lo, 31, v29
	v_bfe_u32 v25, v24, 20, 11
	s_delay_alu instid0(VALU_DEP_3)
	v_and_or_b32 v16, 0xffe, v10, v1
	v_and_or_b32 v10, 0x1ff, v24, v23
	s_wait_alu 0xfffd
	v_cndmask_b32_e32 v15, 0x7c00, v0, vcc_lo
	v_cvt_f32_f16_e32 v0, v5
	v_sub_nc_u32_e32 v5, 0x3f1, v12
	v_or_b32_e32 v17, 0x1000, v16
	v_cmp_ne_u32_e32 vcc_lo, 0, v10
	v_lshrrev_b32_e32 v23, 8, v24
	v_cvt_f64_f32_e32 v[0:1], v0
	v_med3_i32 v5, v5, 0, 13
	v_add_nc_u32_e32 v12, 0xfffffc10, v12
	s_wait_alu 0xfffd
	v_cndmask_b32_e64 v10, 0, 1, vcc_lo
	v_cmp_eq_u32_e32 vcc_lo, 0x40f, v29
	v_lshrrev_b32_e32 v24, 16, v24
	s_delay_alu instid0(VALU_DEP_3)
	v_and_or_b32 v23, 0xffe, v23, v10
	s_wait_alu 0xfffd
	v_cndmask_b32_e32 v11, v15, v6, vcc_lo
	v_lshrrev_b32_e32 v15, v5, v17
	v_sub_nc_u32_e32 v6, 0x3f1, v25
	v_cvt_f32_f16_e32 v10, v3
	v_or_b32_e32 v27, 0x1000, v23
	v_mad_co_u64_u32 v[3:4], null, s20, v22, 0
	v_lshlrev_b32_e32 v26, v5, v15
	v_med3_i32 v28, v6, 0, 13
	v_cvt_f64_f32_e32 v[5:6], v10
	v_lshrrev_b32_e32 v10, 16, v13
	s_delay_alu instid0(VALU_DEP_4) | instskip(NEXT) | instid1(VALU_DEP_4)
	v_cmp_ne_u32_e32 vcc_lo, v26, v17
	v_lshrrev_b32_e32 v17, v28, v27
	s_delay_alu instid0(VALU_DEP_3) | instskip(SKIP_4) | instid1(VALU_DEP_3)
	v_and_or_b32 v26, 0x8000, v10, v11
	s_wait_alu 0xfffd
	v_cndmask_b32_e64 v13, 0, 1, vcc_lo
	v_cmp_gt_i32_e32 vcc_lo, 1, v12
	v_lshlrev_b32_e32 v28, v28, v17
	v_or_b32_e32 v13, v15, v13
	v_lshl_or_b32 v15, v12, 12, v16
	s_wait_alu 0xfffd
	s_delay_alu instid0(VALU_DEP_1)
	v_cndmask_b32_e32 v13, v15, v13, vcc_lo
	v_cmp_ne_u32_e32 vcc_lo, v28, v27
	v_mul_f64_e32 v[0:1], s[26:27], v[0:1]
	s_wait_loadcnt 0x1
	v_lshrrev_b32_e32 v27, 16, v9
	v_and_b32_e32 v15, 7, v13
	v_lshrrev_b32_e32 v13, 2, v13
	s_delay_alu instid0(VALU_DEP_2)
	v_cmp_eq_u32_e64 s0, 3, v15
	v_mad_co_u64_u32 v[10:11], null, s21, v22, v[4:5]
	v_and_b32_e32 v11, 0xffff, v14
	s_wait_alu 0xfffd
	v_cndmask_b32_e64 v14, 0, 1, vcc_lo
	v_add_nc_u32_e32 v22, 0xfffffc10, v25
	v_cmp_lt_i32_e32 vcc_lo, 5, v15
	v_mul_f64_e32 v[5:6], s[26:27], v[5:6]
	s_delay_alu instid0(VALU_DEP_4) | instskip(NEXT) | instid1(VALU_DEP_4)
	v_or_b32_e32 v14, v17, v14
	v_lshl_or_b32 v17, v22, 12, v23
	v_cmp_gt_i32_e64 s1, 1, v22
	s_or_b32 vcc_lo, s0, vcc_lo
	v_mov_b32_e32 v4, v10
	s_wait_alu 0xfffe
	v_add_co_ci_u32_e32 v13, vcc_lo, 0, v13, vcc_lo
	v_cndmask_b32_e64 v14, v17, v14, s1
	v_cmp_ne_u32_e32 vcc_lo, 0, v16
	v_lshlrev_b64_e32 v[3:4], 2, v[3:4]
	s_delay_alu instid0(VALU_DEP_3)
	v_and_b32_e32 v15, 7, v14
	s_wait_alu 0xfffd
	v_cndmask_b32_e64 v16, 0, 1, vcc_lo
	v_cmp_gt_i32_e32 vcc_lo, 31, v12
	v_lshrrev_b32_e32 v14, 2, v14
	v_and_or_b32 v0, 0x1ff, v1, v0
	v_cmp_eq_u32_e64 s0, 3, v15
	v_lshrrev_b32_e32 v28, 8, v1
	s_wait_alu 0xfffd
	v_cndmask_b32_e32 v13, 0x7c00, v13, vcc_lo
	v_cmp_lt_i32_e32 vcc_lo, 5, v15
	v_lshl_or_b32 v15, v16, 9, 0x7c00
	v_bfe_u32 v29, v1, 20, 11
	s_or_b32 vcc_lo, s0, vcc_lo
	s_wait_alu 0xfffe
	v_add_co_ci_u32_e32 v14, vcc_lo, 0, v14, vcc_lo
	v_cmp_eq_u32_e32 vcc_lo, 0x40f, v12
	s_wait_alu 0xfffd
	v_cndmask_b32_e32 v16, v13, v15, vcc_lo
	v_cmp_gt_i32_e32 vcc_lo, 31, v22
	v_mad_co_u64_u32 v[12:13], null, s20, v21, 0
	v_and_or_b32 v5, 0x1ff, v6, v5
	s_delay_alu instid0(VALU_DEP_4)
	v_and_or_b32 v7, 0x8000, v7, v16
	s_wait_alu 0xfffd
	v_cndmask_b32_e32 v17, 0x7c00, v14, vcc_lo
	v_cmp_ne_u32_e32 vcc_lo, 0, v23
	v_sub_nc_u32_e32 v16, 0x3f1, v29
	v_and_b32_e32 v7, 0xffff, v7
	s_wait_alu 0xfffd
	v_cndmask_b32_e64 v23, 0, 1, vcc_lo
	v_cmp_ne_u32_e32 vcc_lo, 0, v0
	s_delay_alu instid0(VALU_DEP_2) | instskip(SKIP_3) | instid1(VALU_DEP_2)
	v_lshl_or_b32 v23, v23, 9, 0x7c00
	s_wait_alu 0xfffd
	v_cndmask_b32_e64 v0, 0, 1, vcc_lo
	v_cmp_eq_u32_e32 vcc_lo, 0x40f, v22
	v_and_or_b32 v28, 0xffe, v28, v0
	s_wait_alu 0xfffd
	v_cndmask_b32_e32 v22, v17, v23, vcc_lo
	v_lshl_or_b32 v25, v26, 16, v11
	ds_load_2addr_b32 v[10:11], v31 offset0:72 offset1:80
	v_mov_b32_e32 v0, v13
	v_or_b32_e32 v23, 0x1000, v28
	v_med3_i32 v13, v16, 0, 13
	v_cmp_ne_u32_e32 vcc_lo, 0, v5
	v_and_or_b32 v22, 0x8000, v24, v22
	v_mad_co_u64_u32 v[16:17], null, s21, v21, v[0:1]
	s_delay_alu instid0(VALU_DEP_4)
	v_lshrrev_b32_e32 v0, v13, v23
	s_wait_alu 0xfffd
	v_cndmask_b32_e64 v5, 0, 1, vcc_lo
	v_lshrrev_b32_e32 v17, 8, v6
	v_bfe_u32 v21, v6, 20, 11
	v_lshrrev_b32_e32 v6, 16, v6
	v_dual_mov_b32 v13, v16 :: v_dual_lshlrev_b32 v24, v13, v0
	s_delay_alu instid0(VALU_DEP_4) | instskip(NEXT) | instid1(VALU_DEP_4)
	v_and_or_b32 v5, 0xffe, v17, v5
	v_sub_nc_u32_e32 v16, 0x3f1, v21
	s_delay_alu instid0(VALU_DEP_3) | instskip(NEXT) | instid1(VALU_DEP_4)
	v_cmp_ne_u32_e32 vcc_lo, v24, v23
	v_lshlrev_b64_e32 v[12:13], 2, v[12:13]
	s_wait_dscnt 0x0
	v_lshrrev_b32_e32 v26, 16, v10
	v_or_b32_e32 v23, 0x1000, v5
	v_med3_i32 v16, v16, 0, 13
	s_wait_alu 0xfffd
	v_cndmask_b32_e64 v17, 0, 1, vcc_lo
	v_mul_f16_e32 v15, v26, v27
	s_delay_alu instid0(VALU_DEP_3) | instskip(NEXT) | instid1(VALU_DEP_3)
	v_lshrrev_b32_e32 v24, v16, v23
	v_or_b32_e32 v0, v0, v17
	s_delay_alu instid0(VALU_DEP_3)
	v_fmac_f16_e32 v15, v10, v9
	v_mul_f16_e32 v10, v10, v27
	v_add_nc_u32_e32 v27, 0xfffffc10, v29
	v_lshlrev_b32_e32 v16, v16, v24
	v_add_nc_u32_e32 v29, 0xfffffc10, v21
	v_cvt_f32_f16_e32 v14, v15
	v_fma_f16 v9, v9, v26, -v10
	v_lshl_or_b32 v10, v27, 12, v28
	v_cmp_gt_i32_e32 vcc_lo, 1, v27
	v_lshl_or_b32 v26, v22, 16, v7
	v_cvt_f64_f32_e32 v[14:15], v14
	v_cvt_f32_f16_e32 v17, v9
	v_cmp_gt_i32_e64 s1, 1, v29
	s_wait_alu 0xfffd
	v_cndmask_b32_e32 v0, v10, v0, vcc_lo
	v_add_co_u32 v3, vcc_lo, v2, v3
	s_wait_alu 0xfffd
	v_add_co_ci_u32_e32 v4, vcc_lo, v8, v4, vcc_lo
	v_cmp_ne_u32_e32 vcc_lo, v16, v23
	v_and_b32_e32 v7, 7, v0
	v_lshrrev_b32_e32 v0, 2, v0
	v_lshrrev_b32_e32 v21, 16, v11
	s_wait_loadcnt 0x0
	v_lshrrev_b32_e32 v22, 16, v34
	s_wait_alu 0xfffd
	v_cndmask_b32_e64 v16, 0, 1, vcc_lo
	v_add_co_u32 v12, vcc_lo, v2, v12
	s_wait_alu 0xfffd
	v_add_co_ci_u32_e32 v13, vcc_lo, v8, v13, vcc_lo
	v_cmp_lt_i32_e32 vcc_lo, 5, v7
	v_cmp_eq_u32_e64 s0, 3, v7
	v_or_b32_e32 v16, v24, v16
	v_mul_f16_e32 v23, v21, v22
	s_delay_alu instid0(VALU_DEP_3)
	s_or_b32 vcc_lo, s0, vcc_lo
	s_wait_alu 0xfffe
	v_add_co_ci_u32_e32 v0, vcc_lo, 0, v0, vcc_lo
	v_cmp_ne_u32_e32 vcc_lo, 0, v28
	v_fmac_f16_e32 v23, v11, v34
	v_mul_f16_e32 v11, v11, v22
	s_delay_alu instid0(VALU_DEP_1) | instskip(SKIP_3) | instid1(VALU_DEP_4)
	v_fma_f16 v11, v34, v21, -v11
	v_mul_f64_e32 v[9:10], s[26:27], v[14:15]
	v_cvt_f64_f32_e32 v[14:15], v17
	v_lshl_or_b32 v17, v29, 12, v5
	v_cvt_f32_f16_e32 v11, v11
	s_delay_alu instid0(VALU_DEP_2) | instskip(SKIP_3) | instid1(VALU_DEP_3)
	v_cndmask_b32_e64 v7, v17, v16, s1
	s_wait_alu 0xfffd
	v_cndmask_b32_e64 v16, 0, 1, vcc_lo
	v_cmp_gt_i32_e32 vcc_lo, 31, v27
	v_and_b32_e32 v17, 7, v7
	v_lshrrev_b32_e32 v7, 2, v7
	s_wait_alu 0xfffd
	v_cndmask_b32_e32 v0, 0x7c00, v0, vcc_lo
	v_lshl_or_b32 v28, v16, 9, 0x7c00
	v_cvt_f32_f16_e32 v16, v23
	v_cmp_lt_i32_e32 vcc_lo, 5, v17
	v_cmp_eq_u32_e64 s0, 3, v17
	s_delay_alu instid0(VALU_DEP_3) | instskip(NEXT) | instid1(VALU_DEP_2)
	v_cvt_f64_f32_e32 v[16:17], v16
	s_or_b32 vcc_lo, s0, vcc_lo
	s_wait_alu 0xfffe
	v_add_co_ci_u32_e32 v7, vcc_lo, 0, v7, vcc_lo
	v_cmp_gt_i32_e32 vcc_lo, 31, v29
	s_wait_alu 0xfffd
	s_delay_alu instid0(VALU_DEP_2)
	v_cndmask_b32_e32 v7, 0x7c00, v7, vcc_lo
	v_cmp_ne_u32_e32 vcc_lo, 0, v5
	v_and_or_b32 v9, 0x1ff, v10, v9
	v_mul_f64_e32 v[14:15], s[26:27], v[14:15]
	v_lshrrev_b32_e32 v23, 8, v10
	v_bfe_u32 v30, v10, 20, 11
	s_wait_alu 0xfffd
	v_cndmask_b32_e64 v5, 0, 1, vcc_lo
	v_cmp_ne_u32_e64 s1, 0, v9
	v_cmp_eq_u32_e32 vcc_lo, 0x40f, v27
	v_lshrrev_b32_e32 v10, 16, v10
	v_sub_nc_u32_e32 v22, 0x3f1, v30
	v_lshl_or_b32 v5, v5, 9, 0x7c00
	s_wait_alu 0xf1ff
	v_cndmask_b32_e64 v9, 0, 1, s1
	s_delay_alu instid0(VALU_DEP_3) | instskip(SKIP_1) | instid1(VALU_DEP_3)
	v_med3_i32 v32, v22, 0, 13
	v_mad_co_u64_u32 v[21:22], null, s20, v20, 0
	v_and_or_b32 v9, 0xffe, v23, v9
	v_cvt_f64_f32_e32 v[23:24], v11
	s_wait_alu 0xfffd
	v_cndmask_b32_e32 v11, v0, v28, vcc_lo
	v_cmp_eq_u32_e32 vcc_lo, 0x40f, v29
	v_lshrrev_b32_e32 v28, 16, v1
	v_or_b32_e32 v31, 0x1000, v9
	v_mov_b32_e32 v0, v22
	v_mul_f64_e32 v[16:17], s[26:27], v[16:17]
	s_wait_alu 0xfffd
	v_cndmask_b32_e32 v5, v7, v5, vcc_lo
	v_and_or_b32 v11, 0x8000, v28, v11
	v_lshrrev_b32_e32 v33, v32, v31
	v_mad_co_u64_u32 v[0:1], null, s21, v20, v[0:1]
	s_delay_alu instid0(VALU_DEP_4) | instskip(NEXT) | instid1(VALU_DEP_4)
	v_and_or_b32 v5, 0x8000, v6, v5
	v_and_b32_e32 v6, 0xffff, v11
	s_delay_alu instid0(VALU_DEP_4) | instskip(NEXT) | instid1(VALU_DEP_4)
	v_lshlrev_b32_e32 v27, v32, v33
	v_mov_b32_e32 v22, v0
	s_delay_alu instid0(VALU_DEP_2)
	v_cmp_ne_u32_e32 vcc_lo, v27, v31
	v_add_nc_u32_e32 v27, 0xfffffc10, v30
	v_and_or_b32 v14, 0x1ff, v15, v14
	v_lshrrev_b32_e32 v20, 8, v15
	s_wait_alu 0xfffd
	v_cndmask_b32_e64 v7, 0, 1, vcc_lo
	v_bfe_u32 v29, v15, 20, 11
	v_cmp_ne_u32_e32 vcc_lo, 0, v14
	s_delay_alu instid0(VALU_DEP_3)
	v_or_b32_e32 v1, v33, v7
	v_lshl_or_b32 v7, v27, 12, v9
	s_wait_alu 0xfffd
	v_cndmask_b32_e64 v14, 0, 1, vcc_lo
	v_cmp_gt_i32_e32 vcc_lo, 1, v27
	s_wait_alu 0xfffd
	v_cndmask_b32_e32 v1, v7, v1, vcc_lo
	s_delay_alu instid0(VALU_DEP_3) | instskip(SKIP_1) | instid1(VALU_DEP_3)
	v_and_or_b32 v7, 0xffe, v20, v14
	v_sub_nc_u32_e32 v14, 0x3f1, v29
	v_and_b32_e32 v20, 7, v1
	s_delay_alu instid0(VALU_DEP_3) | instskip(NEXT) | instid1(VALU_DEP_3)
	v_or_b32_e32 v28, 0x1000, v7
	v_med3_i32 v14, v14, 0, 13
	s_delay_alu instid0(VALU_DEP_3) | instskip(SKIP_2) | instid1(VALU_DEP_4)
	v_cmp_lt_i32_e32 vcc_lo, 5, v20
	v_cmp_eq_u32_e64 s0, 3, v20
	v_lshrrev_b32_e32 v20, 2, v1
	v_lshrrev_b32_e32 v11, v14, v28
	v_mul_f64_e32 v[0:1], s[26:27], v[23:24]
	v_lshl_or_b32 v23, v5, 16, v6
	s_or_b32 vcc_lo, s0, vcc_lo
	s_wait_alu 0xfffe
	v_add_co_ci_u32_e32 v6, vcc_lo, 0, v20, vcc_lo
	v_lshlrev_b32_e32 v5, v14, v11
	v_cmp_ne_u32_e32 vcc_lo, 0, v9
	v_add_nc_u32_e32 v20, 0xfffffc10, v29
	s_wait_alu 0xfffd
	v_cndmask_b32_e64 v9, 0, 1, vcc_lo
	v_cmp_ne_u32_e32 vcc_lo, v5, v28
	s_delay_alu instid0(VALU_DEP_2) | instskip(SKIP_3) | instid1(VALU_DEP_2)
	v_lshl_or_b32 v9, v9, 9, 0x7c00
	s_wait_alu 0xfffd
	v_cndmask_b32_e64 v14, 0, 1, vcc_lo
	v_cmp_gt_i32_e32 vcc_lo, 31, v27
	v_or_b32_e32 v11, v11, v14
	s_wait_alu 0xfffd
	v_cndmask_b32_e32 v24, 0x7c00, v6, vcc_lo
	v_cmp_eq_u32_e32 vcc_lo, 0x40f, v27
	v_lshl_or_b32 v14, v20, 12, v7
	v_lshlrev_b64_e32 v[5:6], 2, v[21:22]
	s_wait_alu 0xfffd
	v_cndmask_b32_e32 v9, v24, v9, vcc_lo
	v_cmp_gt_i32_e32 vcc_lo, 1, v20
	s_delay_alu instid0(VALU_DEP_2)
	v_and_or_b32 v21, 0x8000, v10, v9
	s_wait_alu 0xfffd
	v_cndmask_b32_e32 v11, v14, v11, vcc_lo
	v_and_or_b32 v14, 0x1ff, v17, v16
	v_add_co_u32 v5, vcc_lo, v2, v5
	s_wait_alu 0xfffd
	v_add_co_ci_u32_e32 v6, vcc_lo, v8, v6, vcc_lo
	s_delay_alu instid0(VALU_DEP_3)
	v_cmp_ne_u32_e32 vcc_lo, 0, v14
	v_and_b32_e32 v9, 7, v11
	v_lshrrev_b32_e32 v14, 8, v17
	v_bfe_u32 v16, v17, 20, 11
	v_and_or_b32 v0, 0x1ff, v1, v0
	s_wait_alu 0xfffd
	v_cndmask_b32_e64 v10, 0, 1, vcc_lo
	v_cmp_lt_i32_e32 vcc_lo, 5, v9
	v_cmp_eq_u32_e64 s0, 3, v9
	v_lshrrev_b32_e32 v9, 2, v11
	v_bfe_u32 v24, v1, 20, 11
	v_and_or_b32 v22, 0xffe, v14, v10
	v_sub_nc_u32_e32 v10, 0x3f1, v16
	s_or_b32 vcc_lo, s0, vcc_lo
	v_lshrrev_b32_e32 v14, 8, v1
	s_wait_alu 0xfffe
	v_add_co_ci_u32_e32 v9, vcc_lo, 0, v9, vcc_lo
	v_or_b32_e32 v11, 0x1000, v22
	v_med3_i32 v10, v10, 0, 13
	v_cmp_ne_u32_e32 vcc_lo, 0, v0
	v_add_nc_u32_e32 v30, 0xfffffc10, v16
	s_delay_alu instid0(VALU_DEP_3) | instskip(SKIP_3) | instid1(VALU_DEP_3)
	v_lshrrev_b32_e32 v27, v10, v11
	s_wait_alu 0xfffd
	v_cndmask_b32_e64 v0, 0, 1, vcc_lo
	v_cmp_ne_u32_e32 vcc_lo, 0, v7
	v_lshlrev_b32_e32 v10, v10, v27
	s_delay_alu instid0(VALU_DEP_3)
	v_and_or_b32 v28, 0xffe, v14, v0
	s_wait_alu 0xfffd
	v_cndmask_b32_e64 v7, 0, 1, vcc_lo
	v_sub_nc_u32_e32 v0, 0x3f1, v24
	v_cmp_gt_i32_e32 vcc_lo, 31, v20
	v_add_nc_u32_e32 v24, 0xfffffc10, v24
	v_or_b32_e32 v29, 0x1000, v28
	v_lshl_or_b32 v7, v7, 9, 0x7c00
	v_med3_i32 v0, v0, 0, 13
	s_wait_alu 0xfffd
	v_cndmask_b32_e32 v14, 0x7c00, v9, vcc_lo
	v_cmp_ne_u32_e32 vcc_lo, v10, v11
	v_mad_co_u64_u32 v[9:10], null, s20, v19, 0
	v_lshrrev_b32_e32 v16, v0, v29
	v_cmp_gt_i32_e64 s1, 1, v24
	s_wait_alu 0xfffd
	v_cndmask_b32_e64 v11, 0, 1, vcc_lo
	v_cmp_eq_u32_e32 vcc_lo, 0x40f, v20
	v_dual_mov_b32 v0, v10 :: v_dual_lshlrev_b32 v31, v0, v16
	s_delay_alu instid0(VALU_DEP_3)
	v_or_b32_e32 v11, v27, v11
	v_lshl_or_b32 v27, v30, 12, v22
	s_wait_alu 0xfffd
	v_cndmask_b32_e32 v7, v14, v7, vcc_lo
	v_cmp_gt_i32_e32 vcc_lo, 1, v30
	s_wait_alu 0xfffd
	v_cndmask_b32_e32 v14, v27, v11, vcc_lo
	v_cmp_ne_u32_e32 vcc_lo, v31, v29
	v_mad_co_u64_u32 v[10:11], null, s21, v19, v[0:1]
	v_lshl_or_b32 v11, v24, 12, v28
	s_delay_alu instid0(VALU_DEP_4) | instskip(SKIP_3) | instid1(VALU_DEP_3)
	v_and_b32_e32 v27, 7, v14
	s_wait_alu 0xfffd
	v_cndmask_b32_e64 v20, 0, 1, vcc_lo
	v_lshrrev_b32_e32 v14, 2, v14
	v_cmp_lt_i32_e32 vcc_lo, 5, v27
	s_delay_alu instid0(VALU_DEP_3) | instskip(SKIP_2) | instid1(VALU_DEP_2)
	v_or_b32_e32 v0, v16, v20
	v_cmp_eq_u32_e64 s0, 3, v27
	s_wait_alu 0xf1ff
	v_cndmask_b32_e64 v0, v11, v0, s1
	s_delay_alu instid0(VALU_DEP_2)
	s_or_b32 vcc_lo, s0, vcc_lo
	v_lshrrev_b32_e32 v11, 16, v15
	s_wait_alu 0xfffe
	v_add_co_ci_u32_e32 v14, vcc_lo, 0, v14, vcc_lo
	v_and_b32_e32 v15, 7, v0
	v_cmp_gt_i32_e32 vcc_lo, 31, v30
	v_and_or_b32 v7, 0x8000, v11, v7
	v_lshrrev_b32_e32 v0, 2, v0
	v_cmp_ne_u32_e64 s1, 0, v22
	v_cmp_eq_u32_e64 s0, 3, v15
	s_wait_alu 0xfffd
	v_cndmask_b32_e32 v11, 0x7c00, v14, vcc_lo
	v_cmp_lt_i32_e32 vcc_lo, 5, v15
	v_mad_co_u64_u32 v[14:15], null, s20, v18, 0
	s_wait_alu 0xf1ff
	v_cndmask_b32_e64 v16, 0, 1, s1
	s_or_b32 vcc_lo, s0, vcc_lo
	s_wait_alu 0xfffe
	v_add_co_ci_u32_e32 v19, vcc_lo, 0, v0, vcc_lo
	v_cmp_ne_u32_e32 vcc_lo, 0, v28
	v_lshl_or_b32 v22, v16, 9, 0x7c00
	v_mov_b32_e32 v0, v15
	s_wait_alu 0xfffd
	v_cndmask_b32_e64 v20, 0, 1, vcc_lo
	v_cmp_gt_i32_e32 vcc_lo, 31, v24
	s_delay_alu instid0(VALU_DEP_3) | instskip(SKIP_1) | instid1(VALU_DEP_4)
	v_mad_co_u64_u32 v[15:16], null, s21, v18, v[0:1]
	v_lshrrev_b32_e32 v18, 16, v1
	v_lshl_or_b32 v20, v20, 9, 0x7c00
	s_wait_alu 0xfffd
	v_cndmask_b32_e32 v19, 0x7c00, v19, vcc_lo
	v_cmp_eq_u32_e32 vcc_lo, 0x40f, v30
	s_wait_alu 0xfffd
	v_cndmask_b32_e32 v0, v11, v22, vcc_lo
	v_lshrrev_b32_e32 v11, 16, v17
	v_cmp_eq_u32_e32 vcc_lo, 0x40f, v24
	v_and_b32_e32 v16, 0xffff, v21
	s_delay_alu instid0(VALU_DEP_3)
	v_and_or_b32 v11, 0x8000, v11, v0
	s_wait_alu 0xfffd
	v_cndmask_b32_e32 v17, v19, v20, vcc_lo
	v_lshlrev_b64_e32 v[0:1], 2, v[9:10]
	v_lshlrev_b64_e32 v[9:10], 2, v[14:15]
	v_lshl_or_b32 v16, v7, 16, v16
	v_and_b32_e32 v11, 0xffff, v11
	v_and_or_b32 v7, 0x8000, v18, v17
	v_add_co_u32 v0, vcc_lo, v2, v0
	s_wait_alu 0xfffd
	v_add_co_ci_u32_e32 v1, vcc_lo, v8, v1, vcc_lo
	s_delay_alu instid0(VALU_DEP_3)
	v_lshl_or_b32 v11, v7, 16, v11
	v_add_co_u32 v7, vcc_lo, v2, v9
	s_wait_alu 0xfffd
	v_add_co_ci_u32_e32 v8, vcc_lo, v8, v10, vcc_lo
	s_clause 0x4
	global_store_b32 v[3:4], v25, off
	global_store_b32 v[12:13], v26, off
	;; [unrolled: 1-line block ×5, first 2 shown]
.LBB0_15:
	s_nop 0
	s_sendmsg sendmsg(MSG_DEALLOC_VGPRS)
	s_endpgm
	.section	.rodata,"a",@progbits
	.p2align	6, 0x0
	.amdhsa_kernel bluestein_single_fwd_len88_dim1_half_op_CI_CI
		.amdhsa_group_segment_fixed_size 3872
		.amdhsa_private_segment_fixed_size 0
		.amdhsa_kernarg_size 104
		.amdhsa_user_sgpr_count 2
		.amdhsa_user_sgpr_dispatch_ptr 0
		.amdhsa_user_sgpr_queue_ptr 0
		.amdhsa_user_sgpr_kernarg_segment_ptr 1
		.amdhsa_user_sgpr_dispatch_id 0
		.amdhsa_user_sgpr_private_segment_size 0
		.amdhsa_wavefront_size32 1
		.amdhsa_uses_dynamic_stack 0
		.amdhsa_enable_private_segment 0
		.amdhsa_system_sgpr_workgroup_id_x 1
		.amdhsa_system_sgpr_workgroup_id_y 0
		.amdhsa_system_sgpr_workgroup_id_z 0
		.amdhsa_system_sgpr_workgroup_info 0
		.amdhsa_system_vgpr_workitem_id 0
		.amdhsa_next_free_vgpr 110
		.amdhsa_next_free_sgpr 28
		.amdhsa_reserve_vcc 1
		.amdhsa_float_round_mode_32 0
		.amdhsa_float_round_mode_16_64 0
		.amdhsa_float_denorm_mode_32 3
		.amdhsa_float_denorm_mode_16_64 3
		.amdhsa_fp16_overflow 0
		.amdhsa_workgroup_processor_mode 1
		.amdhsa_memory_ordered 1
		.amdhsa_forward_progress 0
		.amdhsa_round_robin_scheduling 0
		.amdhsa_exception_fp_ieee_invalid_op 0
		.amdhsa_exception_fp_denorm_src 0
		.amdhsa_exception_fp_ieee_div_zero 0
		.amdhsa_exception_fp_ieee_overflow 0
		.amdhsa_exception_fp_ieee_underflow 0
		.amdhsa_exception_fp_ieee_inexact 0
		.amdhsa_exception_int_div_zero 0
	.end_amdhsa_kernel
	.text
.Lfunc_end0:
	.size	bluestein_single_fwd_len88_dim1_half_op_CI_CI, .Lfunc_end0-bluestein_single_fwd_len88_dim1_half_op_CI_CI
                                        ; -- End function
	.section	.AMDGPU.csdata,"",@progbits
; Kernel info:
; codeLenInByte = 15800
; NumSgprs: 30
; NumVgprs: 110
; ScratchSize: 0
; MemoryBound: 0
; FloatMode: 240
; IeeeMode: 1
; LDSByteSize: 3872 bytes/workgroup (compile time only)
; SGPRBlocks: 3
; VGPRBlocks: 13
; NumSGPRsForWavesPerEU: 30
; NumVGPRsForWavesPerEU: 110
; Occupancy: 12
; WaveLimiterHint : 1
; COMPUTE_PGM_RSRC2:SCRATCH_EN: 0
; COMPUTE_PGM_RSRC2:USER_SGPR: 2
; COMPUTE_PGM_RSRC2:TRAP_HANDLER: 0
; COMPUTE_PGM_RSRC2:TGID_X_EN: 1
; COMPUTE_PGM_RSRC2:TGID_Y_EN: 0
; COMPUTE_PGM_RSRC2:TGID_Z_EN: 0
; COMPUTE_PGM_RSRC2:TIDIG_COMP_CNT: 0
	.text
	.p2alignl 7, 3214868480
	.fill 96, 4, 3214868480
	.type	__hip_cuid_94caf2b8025b48d5,@object ; @__hip_cuid_94caf2b8025b48d5
	.section	.bss,"aw",@nobits
	.globl	__hip_cuid_94caf2b8025b48d5
__hip_cuid_94caf2b8025b48d5:
	.byte	0                               ; 0x0
	.size	__hip_cuid_94caf2b8025b48d5, 1

	.ident	"AMD clang version 19.0.0git (https://github.com/RadeonOpenCompute/llvm-project roc-6.4.0 25133 c7fe45cf4b819c5991fe208aaa96edf142730f1d)"
	.section	".note.GNU-stack","",@progbits
	.addrsig
	.addrsig_sym __hip_cuid_94caf2b8025b48d5
	.amdgpu_metadata
---
amdhsa.kernels:
  - .args:
      - .actual_access:  read_only
        .address_space:  global
        .offset:         0
        .size:           8
        .value_kind:     global_buffer
      - .actual_access:  read_only
        .address_space:  global
        .offset:         8
        .size:           8
        .value_kind:     global_buffer
      - .actual_access:  read_only
        .address_space:  global
        .offset:         16
        .size:           8
        .value_kind:     global_buffer
      - .actual_access:  read_only
        .address_space:  global
        .offset:         24
        .size:           8
        .value_kind:     global_buffer
      - .actual_access:  read_only
        .address_space:  global
        .offset:         32
        .size:           8
        .value_kind:     global_buffer
      - .offset:         40
        .size:           8
        .value_kind:     by_value
      - .address_space:  global
        .offset:         48
        .size:           8
        .value_kind:     global_buffer
      - .address_space:  global
        .offset:         56
        .size:           8
        .value_kind:     global_buffer
      - .address_space:  global
        .offset:         64
        .size:           8
        .value_kind:     global_buffer
      - .address_space:  global
        .offset:         72
        .size:           8
        .value_kind:     global_buffer
      - .offset:         80
        .size:           4
        .value_kind:     by_value
      - .address_space:  global
        .offset:         88
        .size:           8
        .value_kind:     global_buffer
      - .address_space:  global
        .offset:         96
        .size:           8
        .value_kind:     global_buffer
    .group_segment_fixed_size: 3872
    .kernarg_segment_align: 8
    .kernarg_segment_size: 104
    .language:       OpenCL C
    .language_version:
      - 2
      - 0
    .max_flat_workgroup_size: 121
    .name:           bluestein_single_fwd_len88_dim1_half_op_CI_CI
    .private_segment_fixed_size: 0
    .sgpr_count:     30
    .sgpr_spill_count: 0
    .symbol:         bluestein_single_fwd_len88_dim1_half_op_CI_CI.kd
    .uniform_work_group_size: 1
    .uses_dynamic_stack: false
    .vgpr_count:     110
    .vgpr_spill_count: 0
    .wavefront_size: 32
    .workgroup_processor_mode: 1
amdhsa.target:   amdgcn-amd-amdhsa--gfx1201
amdhsa.version:
  - 1
  - 2
...

	.end_amdgpu_metadata
